;; amdgpu-corpus repo=ROCm/rocFFT kind=compiled arch=gfx1201 opt=O3
	.text
	.amdgcn_target "amdgcn-amd-amdhsa--gfx1201"
	.amdhsa_code_object_version 6
	.protected	fft_rtc_fwd_len1650_factors_11_2_3_5_5_wgs_110_tpt_110_halfLds_half_op_CI_CI_unitstride_sbrr_dirReg ; -- Begin function fft_rtc_fwd_len1650_factors_11_2_3_5_5_wgs_110_tpt_110_halfLds_half_op_CI_CI_unitstride_sbrr_dirReg
	.globl	fft_rtc_fwd_len1650_factors_11_2_3_5_5_wgs_110_tpt_110_halfLds_half_op_CI_CI_unitstride_sbrr_dirReg
	.p2align	8
	.type	fft_rtc_fwd_len1650_factors_11_2_3_5_5_wgs_110_tpt_110_halfLds_half_op_CI_CI_unitstride_sbrr_dirReg,@function
fft_rtc_fwd_len1650_factors_11_2_3_5_5_wgs_110_tpt_110_halfLds_half_op_CI_CI_unitstride_sbrr_dirReg: ; @fft_rtc_fwd_len1650_factors_11_2_3_5_5_wgs_110_tpt_110_halfLds_half_op_CI_CI_unitstride_sbrr_dirReg
; %bb.0:
	s_clause 0x2
	s_load_b128 s[8:11], s[0:1], 0x0
	s_load_b128 s[4:7], s[0:1], 0x58
	;; [unrolled: 1-line block ×3, first 2 shown]
	v_mul_u32_u24_e32 v1, 0x254, v0
	v_mov_b32_e32 v7, 0
	v_mov_b32_e32 v5, 0
	;; [unrolled: 1-line block ×3, first 2 shown]
	s_delay_alu instid0(VALU_DEP_4) | instskip(NEXT) | instid1(VALU_DEP_1)
	v_lshrrev_b32_e32 v1, 16, v1
	v_dual_mov_b32 v10, v7 :: v_dual_add_nc_u32 v9, ttmp9, v1
	s_wait_kmcnt 0x0
	v_cmp_lt_u64_e64 s2, s[10:11], 2
	s_delay_alu instid0(VALU_DEP_1)
	s_and_b32 vcc_lo, exec_lo, s2
	s_cbranch_vccnz .LBB0_8
; %bb.1:
	s_load_b64 s[2:3], s[0:1], 0x10
	v_mov_b32_e32 v5, 0
	v_mov_b32_e32 v6, 0
	s_delay_alu instid0(VALU_DEP_2)
	v_mov_b32_e32 v1, v5
	s_add_nc_u64 s[16:17], s[14:15], 8
	s_add_nc_u64 s[18:19], s[12:13], 8
	s_mov_b64 s[20:21], 1
	v_mov_b32_e32 v2, v6
	s_wait_kmcnt 0x0
	s_add_nc_u64 s[22:23], s[2:3], 8
	s_mov_b32 s3, 0
.LBB0_2:                                ; =>This Inner Loop Header: Depth=1
	s_load_b64 s[24:25], s[22:23], 0x0
                                        ; implicit-def: $vgpr3_vgpr4
	s_mov_b32 s2, exec_lo
	s_wait_kmcnt 0x0
	v_or_b32_e32 v8, s25, v10
	s_delay_alu instid0(VALU_DEP_1)
	v_cmpx_ne_u64_e32 0, v[7:8]
	s_wait_alu 0xfffe
	s_xor_b32 s26, exec_lo, s2
	s_cbranch_execz .LBB0_4
; %bb.3:                                ;   in Loop: Header=BB0_2 Depth=1
	s_cvt_f32_u32 s2, s24
	s_cvt_f32_u32 s27, s25
	s_sub_nc_u64 s[30:31], 0, s[24:25]
	s_wait_alu 0xfffe
	s_delay_alu instid0(SALU_CYCLE_1) | instskip(SKIP_1) | instid1(SALU_CYCLE_2)
	s_fmamk_f32 s2, s27, 0x4f800000, s2
	s_wait_alu 0xfffe
	v_s_rcp_f32 s2, s2
	s_delay_alu instid0(TRANS32_DEP_1) | instskip(SKIP_1) | instid1(SALU_CYCLE_2)
	s_mul_f32 s2, s2, 0x5f7ffffc
	s_wait_alu 0xfffe
	s_mul_f32 s27, s2, 0x2f800000
	s_wait_alu 0xfffe
	s_delay_alu instid0(SALU_CYCLE_2) | instskip(SKIP_1) | instid1(SALU_CYCLE_2)
	s_trunc_f32 s27, s27
	s_wait_alu 0xfffe
	s_fmamk_f32 s2, s27, 0xcf800000, s2
	s_cvt_u32_f32 s29, s27
	s_wait_alu 0xfffe
	s_delay_alu instid0(SALU_CYCLE_1) | instskip(SKIP_1) | instid1(SALU_CYCLE_2)
	s_cvt_u32_f32 s28, s2
	s_wait_alu 0xfffe
	s_mul_u64 s[34:35], s[30:31], s[28:29]
	s_wait_alu 0xfffe
	s_mul_hi_u32 s37, s28, s35
	s_mul_i32 s36, s28, s35
	s_mul_hi_u32 s2, s28, s34
	s_mul_i32 s33, s29, s34
	s_wait_alu 0xfffe
	s_add_nc_u64 s[36:37], s[2:3], s[36:37]
	s_mul_hi_u32 s27, s29, s34
	s_mul_hi_u32 s38, s29, s35
	s_add_co_u32 s2, s36, s33
	s_wait_alu 0xfffe
	s_add_co_ci_u32 s2, s37, s27
	s_mul_i32 s34, s29, s35
	s_add_co_ci_u32 s35, s38, 0
	s_wait_alu 0xfffe
	s_add_nc_u64 s[34:35], s[2:3], s[34:35]
	s_wait_alu 0xfffe
	v_add_co_u32 v3, s2, s28, s34
	s_delay_alu instid0(VALU_DEP_1) | instskip(SKIP_1) | instid1(VALU_DEP_1)
	s_cmp_lg_u32 s2, 0
	s_add_co_ci_u32 s29, s29, s35
	v_readfirstlane_b32 s28, v3
	s_wait_alu 0xfffe
	s_delay_alu instid0(VALU_DEP_1)
	s_mul_u64 s[30:31], s[30:31], s[28:29]
	s_wait_alu 0xfffe
	s_mul_hi_u32 s35, s28, s31
	s_mul_i32 s34, s28, s31
	s_mul_hi_u32 s2, s28, s30
	s_mul_i32 s33, s29, s30
	s_wait_alu 0xfffe
	s_add_nc_u64 s[34:35], s[2:3], s[34:35]
	s_mul_hi_u32 s27, s29, s30
	s_mul_hi_u32 s28, s29, s31
	s_wait_alu 0xfffe
	s_add_co_u32 s2, s34, s33
	s_add_co_ci_u32 s2, s35, s27
	s_mul_i32 s30, s29, s31
	s_add_co_ci_u32 s31, s28, 0
	s_wait_alu 0xfffe
	s_add_nc_u64 s[30:31], s[2:3], s[30:31]
	s_wait_alu 0xfffe
	v_add_co_u32 v8, s2, v3, s30
	s_delay_alu instid0(VALU_DEP_1) | instskip(SKIP_1) | instid1(VALU_DEP_1)
	s_cmp_lg_u32 s2, 0
	s_add_co_ci_u32 s2, s29, s31
	v_mul_hi_u32 v15, v9, v8
	s_wait_alu 0xfffe
	v_mad_co_u64_u32 v[3:4], null, v9, s2, 0
	v_mad_co_u64_u32 v[11:12], null, v10, v8, 0
	;; [unrolled: 1-line block ×3, first 2 shown]
	s_delay_alu instid0(VALU_DEP_3) | instskip(SKIP_1) | instid1(VALU_DEP_4)
	v_add_co_u32 v3, vcc_lo, v15, v3
	s_wait_alu 0xfffd
	v_add_co_ci_u32_e32 v4, vcc_lo, 0, v4, vcc_lo
	s_delay_alu instid0(VALU_DEP_2) | instskip(SKIP_1) | instid1(VALU_DEP_2)
	v_add_co_u32 v3, vcc_lo, v3, v11
	s_wait_alu 0xfffd
	v_add_co_ci_u32_e32 v3, vcc_lo, v4, v12, vcc_lo
	s_wait_alu 0xfffd
	v_add_co_ci_u32_e32 v4, vcc_lo, 0, v14, vcc_lo
	s_delay_alu instid0(VALU_DEP_2) | instskip(SKIP_1) | instid1(VALU_DEP_2)
	v_add_co_u32 v8, vcc_lo, v3, v13
	s_wait_alu 0xfffd
	v_add_co_ci_u32_e32 v11, vcc_lo, 0, v4, vcc_lo
	s_delay_alu instid0(VALU_DEP_2) | instskip(SKIP_1) | instid1(VALU_DEP_3)
	v_mul_lo_u32 v12, s25, v8
	v_mad_co_u64_u32 v[3:4], null, s24, v8, 0
	v_mul_lo_u32 v13, s24, v11
	s_delay_alu instid0(VALU_DEP_2) | instskip(NEXT) | instid1(VALU_DEP_2)
	v_sub_co_u32 v3, vcc_lo, v9, v3
	v_add3_u32 v4, v4, v13, v12
	s_delay_alu instid0(VALU_DEP_1) | instskip(SKIP_1) | instid1(VALU_DEP_1)
	v_sub_nc_u32_e32 v12, v10, v4
	s_wait_alu 0xfffd
	v_subrev_co_ci_u32_e64 v12, s2, s25, v12, vcc_lo
	v_add_co_u32 v13, s2, v8, 2
	s_wait_alu 0xf1ff
	v_add_co_ci_u32_e64 v14, s2, 0, v11, s2
	v_sub_co_u32 v15, s2, v3, s24
	v_sub_co_ci_u32_e32 v4, vcc_lo, v10, v4, vcc_lo
	s_wait_alu 0xf1ff
	v_subrev_co_ci_u32_e64 v12, s2, 0, v12, s2
	s_delay_alu instid0(VALU_DEP_3) | instskip(NEXT) | instid1(VALU_DEP_3)
	v_cmp_le_u32_e32 vcc_lo, s24, v15
	v_cmp_eq_u32_e64 s2, s25, v4
	s_wait_alu 0xfffd
	v_cndmask_b32_e64 v15, 0, -1, vcc_lo
	v_cmp_le_u32_e32 vcc_lo, s25, v12
	s_wait_alu 0xfffd
	v_cndmask_b32_e64 v16, 0, -1, vcc_lo
	v_cmp_le_u32_e32 vcc_lo, s24, v3
	;; [unrolled: 3-line block ×3, first 2 shown]
	s_wait_alu 0xfffd
	v_cndmask_b32_e64 v17, 0, -1, vcc_lo
	v_cmp_eq_u32_e32 vcc_lo, s25, v12
	s_wait_alu 0xf1ff
	s_delay_alu instid0(VALU_DEP_2)
	v_cndmask_b32_e64 v3, v17, v3, s2
	s_wait_alu 0xfffd
	v_cndmask_b32_e32 v12, v16, v15, vcc_lo
	v_add_co_u32 v15, vcc_lo, v8, 1
	s_wait_alu 0xfffd
	v_add_co_ci_u32_e32 v16, vcc_lo, 0, v11, vcc_lo
	s_delay_alu instid0(VALU_DEP_3) | instskip(SKIP_1) | instid1(VALU_DEP_2)
	v_cmp_ne_u32_e32 vcc_lo, 0, v12
	s_wait_alu 0xfffd
	v_cndmask_b32_e32 v4, v16, v14, vcc_lo
	v_cndmask_b32_e32 v12, v15, v13, vcc_lo
	v_cmp_ne_u32_e32 vcc_lo, 0, v3
	s_wait_alu 0xfffd
	s_delay_alu instid0(VALU_DEP_3) | instskip(NEXT) | instid1(VALU_DEP_3)
	v_cndmask_b32_e32 v4, v11, v4, vcc_lo
	v_cndmask_b32_e32 v3, v8, v12, vcc_lo
.LBB0_4:                                ;   in Loop: Header=BB0_2 Depth=1
	s_wait_alu 0xfffe
	s_and_not1_saveexec_b32 s2, s26
	s_cbranch_execz .LBB0_6
; %bb.5:                                ;   in Loop: Header=BB0_2 Depth=1
	v_cvt_f32_u32_e32 v3, s24
	s_sub_co_i32 s26, 0, s24
	s_delay_alu instid0(VALU_DEP_1) | instskip(NEXT) | instid1(TRANS32_DEP_1)
	v_rcp_iflag_f32_e32 v3, v3
	v_mul_f32_e32 v3, 0x4f7ffffe, v3
	s_delay_alu instid0(VALU_DEP_1) | instskip(SKIP_1) | instid1(VALU_DEP_1)
	v_cvt_u32_f32_e32 v3, v3
	s_wait_alu 0xfffe
	v_mul_lo_u32 v4, s26, v3
	s_delay_alu instid0(VALU_DEP_1) | instskip(NEXT) | instid1(VALU_DEP_1)
	v_mul_hi_u32 v4, v3, v4
	v_add_nc_u32_e32 v3, v3, v4
	s_delay_alu instid0(VALU_DEP_1) | instskip(NEXT) | instid1(VALU_DEP_1)
	v_mul_hi_u32 v3, v9, v3
	v_mul_lo_u32 v4, v3, s24
	v_add_nc_u32_e32 v8, 1, v3
	s_delay_alu instid0(VALU_DEP_2) | instskip(NEXT) | instid1(VALU_DEP_1)
	v_sub_nc_u32_e32 v4, v9, v4
	v_subrev_nc_u32_e32 v11, s24, v4
	v_cmp_le_u32_e32 vcc_lo, s24, v4
	s_wait_alu 0xfffd
	s_delay_alu instid0(VALU_DEP_2) | instskip(NEXT) | instid1(VALU_DEP_1)
	v_dual_cndmask_b32 v4, v4, v11 :: v_dual_cndmask_b32 v3, v3, v8
	v_cmp_le_u32_e32 vcc_lo, s24, v4
	s_delay_alu instid0(VALU_DEP_2) | instskip(SKIP_2) | instid1(VALU_DEP_2)
	v_add_nc_u32_e32 v8, 1, v3
	v_mov_b32_e32 v4, v7
	s_wait_alu 0xfffd
	v_cndmask_b32_e32 v3, v3, v8, vcc_lo
.LBB0_6:                                ;   in Loop: Header=BB0_2 Depth=1
	s_wait_alu 0xfffe
	s_or_b32 exec_lo, exec_lo, s2
	v_mul_lo_u32 v8, v4, s24
	s_delay_alu instid0(VALU_DEP_2)
	v_mul_lo_u32 v13, v3, s25
	s_load_b64 s[26:27], s[18:19], 0x0
	v_mad_co_u64_u32 v[11:12], null, v3, s24, 0
	s_load_b64 s[24:25], s[16:17], 0x0
	s_add_nc_u64 s[20:21], s[20:21], 1
	s_add_nc_u64 s[16:17], s[16:17], 8
	s_wait_alu 0xfffe
	v_cmp_ge_u64_e64 s2, s[20:21], s[10:11]
	s_add_nc_u64 s[18:19], s[18:19], 8
	s_add_nc_u64 s[22:23], s[22:23], 8
	v_add3_u32 v8, v12, v13, v8
	v_sub_co_u32 v9, vcc_lo, v9, v11
	s_wait_alu 0xfffd
	s_delay_alu instid0(VALU_DEP_2) | instskip(SKIP_2) | instid1(VALU_DEP_1)
	v_sub_co_ci_u32_e32 v8, vcc_lo, v10, v8, vcc_lo
	s_and_b32 vcc_lo, exec_lo, s2
	s_wait_kmcnt 0x0
	v_mul_lo_u32 v10, s26, v8
	v_mul_lo_u32 v11, s27, v9
	v_mad_co_u64_u32 v[5:6], null, s26, v9, v[5:6]
	v_mul_lo_u32 v8, s24, v8
	v_mul_lo_u32 v12, s25, v9
	v_mad_co_u64_u32 v[1:2], null, s24, v9, v[1:2]
	s_delay_alu instid0(VALU_DEP_4) | instskip(NEXT) | instid1(VALU_DEP_2)
	v_add3_u32 v6, v11, v6, v10
	v_add3_u32 v2, v12, v2, v8
	s_wait_alu 0xfffe
	s_cbranch_vccnz .LBB0_9
; %bb.7:                                ;   in Loop: Header=BB0_2 Depth=1
	v_dual_mov_b32 v10, v4 :: v_dual_mov_b32 v9, v3
	s_branch .LBB0_2
.LBB0_8:
	v_dual_mov_b32 v1, v5 :: v_dual_mov_b32 v2, v6
	v_dual_mov_b32 v3, v9 :: v_dual_mov_b32 v4, v10
.LBB0_9:
	s_load_b64 s[0:1], s[0:1], 0x28
	v_mul_hi_u32 v42, 0x253c826, v0
	s_lshl_b64 s[10:11], s[10:11], 3
                                        ; implicit-def: $vgpr7
	s_wait_alu 0xfffe
	s_add_nc_u64 s[2:3], s[14:15], s[10:11]
                                        ; implicit-def: $sgpr14
	s_wait_kmcnt 0x0
	v_cmp_gt_u64_e32 vcc_lo, s[0:1], v[3:4]
	v_cmp_le_u64_e64 s0, s[0:1], v[3:4]
	s_delay_alu instid0(VALU_DEP_1)
	s_and_saveexec_b32 s1, s0
	s_wait_alu 0xfffe
	s_xor_b32 s0, exec_lo, s1
; %bb.10:
	v_mul_u32_u24_e32 v5, 0x6e, v42
	s_mov_b32 s14, 0
                                        ; implicit-def: $vgpr42
	s_delay_alu instid0(VALU_DEP_1)
	v_sub_nc_u32_e32 v7, v0, v5
                                        ; implicit-def: $vgpr0
                                        ; implicit-def: $vgpr5_vgpr6
; %bb.11:
	s_wait_alu 0xfffe
	s_or_saveexec_b32 s1, s0
	s_load_b64 s[2:3], s[2:3], 0x0
	v_mov_b32_e32 v9, s14
	v_mov_b32_e32 v39, s14
                                        ; implicit-def: $vgpr34
                                        ; implicit-def: $vgpr40
                                        ; implicit-def: $vgpr62
                                        ; implicit-def: $vgpr36
                                        ; implicit-def: $vgpr61
                                        ; implicit-def: $vgpr33
                                        ; implicit-def: $vgpr60
                                        ; implicit-def: $vgpr32
                                        ; implicit-def: $vgpr59
                                        ; implicit-def: $vgpr31
                                        ; implicit-def: $vgpr53
                                        ; implicit-def: $vgpr29
                                        ; implicit-def: $vgpr54
                                        ; implicit-def: $vgpr30
                                        ; implicit-def: $vgpr58
                                        ; implicit-def: $vgpr35
                                        ; implicit-def: $vgpr57
                                        ; implicit-def: $vgpr37
                                        ; implicit-def: $vgpr56
                                        ; implicit-def: $vgpr38
                                        ; implicit-def: $vgpr55
                                        ; implicit-def: $vgpr41
                                        ; implicit-def: $vgpr19
                                        ; implicit-def: $vgpr25
                                        ; implicit-def: $vgpr18
                                        ; implicit-def: $vgpr23
                                        ; implicit-def: $vgpr17
                                        ; implicit-def: $vgpr22
                                        ; implicit-def: $vgpr16
                                        ; implicit-def: $vgpr20
                                        ; implicit-def: $vgpr15
                                        ; implicit-def: $vgpr8
                                        ; implicit-def: $vgpr10
                                        ; implicit-def: $vgpr28
                                        ; implicit-def: $vgpr11
                                        ; implicit-def: $vgpr27
                                        ; implicit-def: $vgpr12
                                        ; implicit-def: $vgpr26
                                        ; implicit-def: $vgpr13
                                        ; implicit-def: $vgpr24
                                        ; implicit-def: $vgpr14
                                        ; implicit-def: $vgpr21
	s_xor_b32 exec_lo, exec_lo, s1
	s_cbranch_execz .LBB0_15
; %bb.12:
	s_add_nc_u64 s[10:11], s[12:13], s[10:11]
	v_lshlrev_b64_e32 v[5:6], 2, v[5:6]
	s_load_b64 s[10:11], s[10:11], 0x0
	v_mov_b32_e32 v39, 0
                                        ; implicit-def: $vgpr21
                                        ; implicit-def: $vgpr14
                                        ; implicit-def: $vgpr24
                                        ; implicit-def: $vgpr13
                                        ; implicit-def: $vgpr26
                                        ; implicit-def: $vgpr12
                                        ; implicit-def: $vgpr27
                                        ; implicit-def: $vgpr11
                                        ; implicit-def: $vgpr28
                                        ; implicit-def: $vgpr15
                                        ; implicit-def: $vgpr20
                                        ; implicit-def: $vgpr16
                                        ; implicit-def: $vgpr22
                                        ; implicit-def: $vgpr17
                                        ; implicit-def: $vgpr23
                                        ; implicit-def: $vgpr18
                                        ; implicit-def: $vgpr25
                                        ; implicit-def: $vgpr19
	s_wait_kmcnt 0x0
	v_mul_lo_u32 v9, s11, v3
	v_mul_lo_u32 v10, s10, v4
	v_mad_co_u64_u32 v[7:8], null, s10, v3, 0
	s_delay_alu instid0(VALU_DEP_1) | instskip(SKIP_1) | instid1(VALU_DEP_2)
	v_add3_u32 v8, v8, v10, v9
	v_mul_u32_u24_e32 v10, 0x6e, v42
	v_lshlrev_b64_e32 v[8:9], 2, v[7:8]
	s_delay_alu instid0(VALU_DEP_2) | instskip(NEXT) | instid1(VALU_DEP_2)
	v_sub_nc_u32_e32 v7, v0, v10
                                        ; implicit-def: $vgpr10
	v_add_co_u32 v0, s0, s4, v8
	s_wait_alu 0xf1ff
	s_delay_alu instid0(VALU_DEP_3) | instskip(NEXT) | instid1(VALU_DEP_3)
	v_add_co_ci_u32_e64 v8, s0, s5, v9, s0
	v_lshlrev_b32_e32 v9, 2, v7
	s_delay_alu instid0(VALU_DEP_3) | instskip(SKIP_1) | instid1(VALU_DEP_3)
	v_add_co_u32 v0, s0, v0, v5
	s_wait_alu 0xf1ff
	v_add_co_ci_u32_e64 v6, s0, v8, v6, s0
                                        ; implicit-def: $vgpr8
	s_delay_alu instid0(VALU_DEP_2) | instskip(SKIP_1) | instid1(VALU_DEP_2)
	v_add_co_u32 v5, s0, v0, v9
	s_wait_alu 0xf1ff
	v_add_co_ci_u32_e64 v6, s0, 0, v6, s0
	v_cmp_gt_u32_e64 s0, 40, v7
	s_clause 0xa
	global_load_b32 v40, v[5:6], off
	global_load_b32 v36, v[5:6], off offset:600
	global_load_b32 v33, v[5:6], off offset:1200
	global_load_b32 v32, v[5:6], off offset:1800
	global_load_b32 v31, v[5:6], off offset:2400
	global_load_b32 v29, v[5:6], off offset:3000
	global_load_b32 v30, v[5:6], off offset:3600
	global_load_b32 v35, v[5:6], off offset:4200
	global_load_b32 v37, v[5:6], off offset:4800
	global_load_b32 v38, v[5:6], off offset:5400
	global_load_b32 v41, v[5:6], off offset:6000
	v_mov_b32_e32 v9, 0
	s_and_saveexec_b32 s4, s0
	s_cbranch_execz .LBB0_14
; %bb.13:
	s_clause 0xa
	global_load_b32 v39, v[5:6], off offset:440
	global_load_b32 v25, v[5:6], off offset:1040
	;; [unrolled: 1-line block ×11, first 2 shown]
	s_wait_loadcnt 0xa
	v_lshrrev_b32_e32 v9, 16, v39
	s_wait_loadcnt 0x9
	v_lshrrev_b32_e32 v19, 16, v25
	;; [unrolled: 2-line block ×11, first 2 shown]
.LBB0_14:
	s_wait_alu 0xfffe
	s_or_b32 exec_lo, exec_lo, s4
	s_wait_loadcnt 0xa
	v_lshrrev_b32_e32 v34, 16, v40
	s_wait_loadcnt 0x9
	v_lshrrev_b32_e32 v62, 16, v36
	;; [unrolled: 2-line block ×11, first 2 shown]
.LBB0_15:
	s_or_b32 exec_lo, exec_lo, s1
	v_add_f16_e32 v0, v40, v36
	s_delay_alu instid0(VALU_DEP_2)
	v_sub_f16_e32 v66, v62, v55
	v_add_f16_e32 v63, v36, v41
	v_sub_f16_e32 v68, v61, v56
	v_add_f16_e32 v67, v33, v38
	v_add_f16_e32 v0, v0, v33
	v_mul_f16_e32 v74, 0xb482, v66
	v_sub_f16_e32 v70, v60, v57
	v_mul_f16_e32 v76, 0x3853, v68
	v_add_f16_e32 v69, v32, v37
	v_add_f16_e32 v0, v0, v32
	v_fma_f16 v5, v63, 0xbbad, -v74
	v_sub_f16_e32 v72, v59, v58
	v_sub_f16_e32 v48, v19, v10
	v_mul_f16_e32 v77, 0xba0c, v70
	v_add_f16_e32 v0, v0, v31
	v_fma_f16 v6, v67, 0x3abb, -v76
	v_add_f16_e32 v5, v5, v40
	v_add_f16_e32 v71, v31, v35
	v_sub_f16_e32 v75, v53, v54
	v_add_f16_e32 v45, v25, v28
	v_sub_f16_e32 v50, v18, v11
	v_mul_f16_e32 v78, 0x3b47, v72
	v_fma_f16 v42, v69, 0xb93d, -v77
	v_add_f16_e32 v5, v6, v5
	v_add_f16_e32 v0, v0, v29
	v_pk_mul_f16 v43, 0xba0cbbeb, v48 op_sel_hi:[1,0]
	v_add_f16_e32 v73, v29, v30
	v_add_f16_e32 v46, v23, v27
	v_sub_f16_e32 v47, v17, v12
	v_fma_f16 v6, v71, 0x36a6, -v78
	v_add_f16_e32 v5, v42, v5
	v_add_f16_e32 v80, v0, v30
	v_pk_fma_f16 v0, 0xb93db08e, v45, v43 op_sel_hi:[1,0,1] neg_lo:[0,0,1] neg_hi:[0,0,1]
	v_pk_mul_f16 v44, 0x3beb3482, v50 op_sel_hi:[1,0]
	v_mul_f16_e32 v81, 0xbbeb, v75
	v_add_f16_e32 v5, v6, v5
	v_add_f16_e32 v51, v22, v26
	v_pk_add_f16 v0, v39, v0 op_sel_hi:[0,1]
	v_pk_fma_f16 v42, 0xb08ebbad, v46, v44 op_sel_hi:[1,0,1] neg_lo:[0,0,1] neg_hi:[0,0,1]
	v_pk_mul_f16 v6, 0xb8533b47, v47 op_sel_hi:[1,0]
	v_sub_f16_e32 v64, v16, v13
	v_fma_f16 v52, v73, 0xb08e, -v81
	v_add_f16_e32 v49, v20, v24
	v_pk_add_f16 v42, v0, v42
	v_pk_fma_f16 v82, 0x3abb36a6, v51, v6 op_sel_hi:[1,0,1] neg_lo:[0,0,1] neg_hi:[0,0,1]
	v_pk_mul_f16 v0, 0xb482b853, v64 op_sel_hi:[1,0]
	v_add_f16_e32 v83, v52, v5
	v_pk_mul_f16 v5, 0xbb47b853, v66 op_sel_hi:[1,0]
	v_sub_f16_e32 v65, v15, v14
	v_pk_add_f16 v82, v42, v82
	v_pk_fma_f16 v84, 0xbbad3abb, v49, v0 op_sel_hi:[1,0,1] neg_lo:[0,0,1] neg_hi:[0,0,1]
	v_pk_mul_f16 v86, 0xba0cbb47, v68 op_sel_hi:[1,0]
	v_fmamk_f16 v85, v63, 0x3abb, v5
	v_add_f16_e32 v52, v8, v21
	v_pk_mul_f16 v42, 0x3b47ba0c, v65 op_sel_hi:[1,0]
	v_pk_fma_f16 v5, 0x36a63abb, v63, v5 op_sel_hi:[1,0,1] neg_lo:[0,0,1] neg_hi:[0,0,1]
	v_pk_add_f16 v82, v82, v84
	v_add_f16_e32 v84, v85, v40
	v_fmamk_f16 v85, v67, 0x36a6, v86
	v_pk_mul_f16 v87, 0x3482bbeb, v70 op_sel_hi:[1,0]
	v_pk_add_f16 v5, v5, v40 op_sel_hi:[1,0]
	v_pk_fma_f16 v86, 0xb93d36a6, v67, v86 op_sel_hi:[1,0,1] neg_lo:[0,0,1] neg_hi:[0,0,1]
	v_pk_fma_f16 v88, 0x36a6b93d, v52, v42 op_sel_hi:[1,0,1] neg_lo:[0,0,1] neg_hi:[0,0,1]
	v_add_f16_e32 v84, v85, v84
	v_fmamk_f16 v85, v69, 0xb08e, v87
	v_pk_mul_f16 v89, 0x3bebba0c, v72 op_sel_hi:[1,0]
	v_pk_mul_f16 v90, 0xba0cbbeb, v66 op_sel_hi:[1,0]
	v_pk_add_f16 v86, v86, v5
	v_pk_fma_f16 v87, 0xbbadb08e, v69, v87 op_sel_hi:[1,0,1] neg_lo:[0,0,1] neg_hi:[0,0,1]
	v_add_f16_e32 v84, v85, v84
	v_fmamk_f16 v85, v71, 0xb93d, v89
	v_pk_add_f16 v5, v82, v88
	v_pk_fma_f16 v82, 0xb93db08e, v63, v90 op_sel_hi:[1,0,1] neg_lo:[0,0,1] neg_hi:[0,0,1]
	v_pk_mul_f16 v88, 0x3beb3482, v68 op_sel_hi:[1,0]
	v_pk_add_f16 v86, v87, v86
	v_add_f16_e32 v84, v85, v84
	v_pk_fma_f16 v85, 0xb08eb93d, v71, v89 op_sel_hi:[1,0,1] neg_lo:[0,0,1] neg_hi:[0,0,1]
	v_pk_add_f16 v82, v82, v40 op_sel_hi:[1,0]
	v_pk_fma_f16 v87, 0xb08ebbad, v67, v88 op_sel_hi:[1,0,1] neg_lo:[0,0,1] neg_hi:[0,0,1]
	v_pk_mul_f16 v89, 0xb8533b47, v70 op_sel_hi:[1,0]
	v_mul_f16_e32 v79, 0xbbad, v63
	v_pk_add_f16 v85, v85, v86
	v_pk_mul_f16 v86, 0xb93db08e, v63 op_sel_hi:[1,0]
	v_pk_add_f16 v82, v87, v82
	v_pk_fma_f16 v87, 0x3abb36a6, v69, v89 op_sel_hi:[1,0,1] neg_lo:[0,0,1] neg_hi:[0,0,1]
	v_bfi_b32 v74, 0xffff, v74, v90
	v_mul_f16_e32 v90, 0x3abb, v67
	v_bfi_b32 v79, 0xffff, v79, v86
	v_bfi_b32 v76, 0xffff, v76, v88
	v_pk_add_f16 v82, v87, v82
	v_pk_mul_f16 v87, 0xb08ebbad, v67 op_sel_hi:[1,0]
	v_pk_mul_f16 v91, 0x36a6b08e, v63 op_sel_hi:[1,0]
	v_pk_add_f16 v74, v74, v79
	v_pk_mul_f16 v86, 0xb482b853, v72 op_sel_hi:[1,0]
	v_mul_f16_e32 v88, 0xb93d, v69
	v_bfi_b32 v87, 0xffff, v90, v87
	v_bfi_b32 v77, 0xffff, v77, v89
	v_pk_add_f16 v74, v74, v40 op_sel_hi:[1,0]
	v_pk_mul_f16 v89, 0x3853b482, v75 op_sel_hi:[1,0]
	v_pk_fma_f16 v66, 0xbb47bbeb, v66, v91 op_sel_hi:[1,0,1]
	v_pk_add_f16 v76, v76, v87
	v_pk_mul_f16 v87, 0x3abb36a6, v69 op_sel_hi:[1,0]
	v_pk_mul_f16 v67, 0xb93dbbad, v67 op_sel_hi:[1,0]
	v_add_f16_e32 v80, v80, v35
	v_pk_fma_f16 v79, 0xbbad3abb, v71, v86 op_sel_hi:[1,0,1] neg_lo:[0,0,1] neg_hi:[0,0,1]
	v_mul_f16_e32 v90, 0x36a6, v71
	v_bfi_b32 v87, 0xffff, v88, v87
	v_pk_add_f16 v74, v76, v74
	v_fmamk_f16 v76, v73, 0xbbad, v89
	v_pk_fma_f16 v88, 0x3abbbbad, v73, v89 op_sel_hi:[1,0,1] neg_lo:[0,0,1] neg_hi:[0,0,1]
	v_pk_mul_f16 v89, 0xbbad3abb, v71 op_sel_hi:[1,0]
	v_pk_add_f16 v40, v66, v40 op_sel_hi:[1,0]
	v_pk_fma_f16 v66, 0xba0c3482, v68, v67 op_sel_hi:[1,0,1]
	v_pk_mul_f16 v67, 0xbbad36a6, v69 op_sel_hi:[1,0]
	v_add_f16_e32 v80, v80, v37
	v_pk_add_f16 v79, v79, v82
	v_mul_f16_e32 v82, 0xb08e, v73
	v_pk_add_f16 v77, v77, v87
	v_pk_mul_f16 v87, 0x36a6b93d, v73 op_sel_hi:[1,0]
	v_bfi_b32 v78, 0xffff, v78, v86
	v_pk_mul_f16 v86, 0x3b47ba0c, v75 op_sel_hi:[1,0]
	v_bfi_b32 v89, 0xffff, v90, v89
	v_pk_add_f16 v40, v66, v40
	v_pk_fma_f16 v66, 0x34823b47, v70, v67 op_sel_hi:[1,0,1]
	v_pk_mul_f16 v67, 0xb08e3abb, v71 op_sel_hi:[1,0]
	v_add_f16_e32 v80, v80, v38
	v_pk_fma_f16 v68, 0x36a6b93d, v73, v86 op_sel_hi:[1,0,1] neg_lo:[0,0,1] neg_hi:[0,0,1]
	v_pk_add_f16 v69, v77, v74
	v_pk_add_f16 v74, v78, v89
	v_bfi_b32 v70, 0xffff, v81, v86
	v_bfi_b32 v71, 0xffff, v82, v87
	v_pk_add_f16 v40, v66, v40
	v_pk_fma_f16 v66, 0x3bebb853, v72, v67 op_sel_hi:[1,0,1]
	v_pk_mul_f16 v67, 0x3abbb93d, v73 op_sel_hi:[1,0]
	v_add_f16_e32 v80, v80, v41
	v_pk_add_f16 v69, v74, v69
	v_pk_add_f16 v70, v70, v71
	;; [unrolled: 1-line block ×5, first 2 shown]
	v_pk_fma_f16 v73, 0x3853ba0c, v75, v67 op_sel_hi:[1,0,1]
	v_mad_u32_u24 v63, v7, 22, 0
	v_pk_add_f16 v69, v70, v69
	v_alignbit_b32 v68, v83, v71, 16
	v_alignbit_b32 v67, v71, v72, 16
	v_pack_b32_f16 v66, v80, v72
	v_cmp_gt_u32_e64 s1, 40, v7
	v_pk_add_f16 v40, v73, v40
	v_add_f16_e32 v70, v76, v84
	ds_store_b128 v63, v[66:69]
	ds_store_b32 v63, v40 offset:16
	ds_store_b16 v63, v70 offset:20
	s_and_saveexec_b32 s0, s1
	s_cbranch_execz .LBB0_17
; %bb.16:
	v_pack_b32_f16 v68, v48, v48
	v_mul_f16_e32 v48, 0xb482, v48
	v_pack_b32_f16 v72, v50, v50
	v_mul_f16_e32 v50, 0x3853, v50
	;; [unrolled: 2-line block ×3, first 2 shown]
	v_fma_f16 v82, v45, 0xbbad, -v48
	v_pack_b32_f16 v78, v64, v64
	v_fma_f16 v83, v46, 0x3abb, -v50
	v_mul_f16_e32 v64, 0x3b47, v64
	v_fma_f16 v84, v51, 0xb93d, -v47
	v_add_f16_e32 v82, v39, v82
	v_add_f16_e32 v40, v39, v25
	v_pack_b32_f16 v66, v45, v45
	v_pack_b32_f16 v81, v65, v65
	v_mul_f16_e32 v65, 0xbbeb, v65
	v_add_f16_e32 v82, v82, v83
	v_fma_f16 v83, v49, 0x36a6, -v64
	v_add_f16_e32 v40, v40, v23
	v_pk_mul_f16 v67, 0xb93db08e, v45 op_sel_hi:[1,0]
	v_pack_b32_f16 v70, v46, v46
	v_add_f16_e32 v82, v82, v84
	v_pk_mul_f16 v84, 0xbb47b853, v68
	v_mul_f16_e32 v45, 0xbbad, v45
	v_fma_f16 v85, v52, 0xb08e, -v65
	v_pk_mul_f16 v86, 0xba0cbb47, v72
	v_add_f16_e32 v82, v82, v83
	v_fmamk_f16 v83, v66, 0x3abb, v84
	v_add_f16_e32 v40, v40, v22
	v_perm_b32 v69, v39, v39, 0x5040100
	v_pk_mul_f16 v71, 0xb08ebbad, v46 op_sel_hi:[1,0]
	v_pack_b32_f16 v73, v51, v51
	v_mul_f16_e32 v46, 0x3abb, v46
	v_add_f16_e32 v82, v82, v85
	v_add_f16_e32 v39, v39, v83
	v_fmamk_f16 v83, v70, 0x36a6, v86
	v_pk_mul_f16 v85, 0x3482bbeb, v75
	v_pk_fma_f16 v84, 0x36a63abb, v66, v84 neg_lo:[0,0,1] neg_hi:[0,0,1]
	v_bfi_b32 v43, 0xffff, v48, v43
	v_bfi_b32 v45, 0xffff, v45, v67
	v_add_f16_e32 v40, v40, v20
	v_pack_b32_f16 v76, v49, v49
	v_pk_mul_f16 v87, 0x3bebba0c, v78
	v_add_f16_e32 v39, v39, v83
	v_fmamk_f16 v83, v73, 0xb08e, v85
	v_pk_add_f16 v84, v69, v84
	v_pk_fma_f16 v86, 0xb93d36a6, v70, v86 neg_lo:[0,0,1] neg_hi:[0,0,1]
	v_pk_add_f16 v43, v43, v45
	v_bfi_b32 v44, 0xffff, v50, v44
	v_bfi_b32 v45, 0xffff, v46, v71
	v_add_f16_e32 v40, v40, v8
	v_pk_mul_f16 v74, 0x3abb36a6, v51 op_sel_hi:[1,0]
	v_mul_f16_e32 v51, 0xb93d, v51
	v_add_f16_e32 v39, v39, v83
	v_fmamk_f16 v48, v76, 0xb93d, v87
	v_pk_add_f16 v67, v84, v86
	v_pk_fma_f16 v83, 0xbbadb08e, v73, v85 neg_lo:[0,0,1] neg_hi:[0,0,1]
	v_pk_add_f16 v43, v69, v43
	v_pk_add_f16 v44, v44, v45
	v_pk_mul_f16 v45, 0x36a6b08e, v66
	v_add_f16_e32 v40, v40, v21
	v_pk_mul_f16 v77, 0xbbad3abb, v49 op_sel_hi:[1,0]
	v_mul_f16_e32 v49, 0x36a6, v49
	v_add_f16_e32 v39, v39, v48
	v_pk_add_f16 v46, v67, v83
	v_pk_fma_f16 v48, 0xb08eb93d, v76, v87 neg_lo:[0,0,1] neg_hi:[0,0,1]
	v_bfi_b32 v6, 0xffff, v47, v6
	v_bfi_b32 v47, 0xffff, v51, v74
	v_pk_add_f16 v43, v43, v44
	v_pk_fma_f16 v44, 0xbb47bbeb, v68, v45
	v_pk_mul_f16 v45, 0xb93dbbad, v70
	v_add_f16_e32 v40, v24, v40
	v_pk_add_f16 v46, v46, v48
	v_pk_add_f16 v6, v6, v47
	v_bfi_b32 v0, 0xffff, v64, v0
	v_bfi_b32 v47, 0xffff, v49, v77
	v_pk_add_f16 v44, v69, v44
	v_pk_fma_f16 v45, 0xba0c3482, v72, v45
	v_pk_mul_f16 v48, 0xbbad36a6, v73
	v_pack_b32_f16 v79, v52, v52
	v_pk_mul_f16 v80, 0x36a6b93d, v52 op_sel_hi:[1,0]
	v_add_f16_e32 v40, v26, v40
	v_mul_f16_e32 v52, 0xb08e, v52
	v_pk_mul_f16 v88, 0x3853b482, v81
	v_pk_add_f16 v6, v43, v6
	v_pk_add_f16 v0, v0, v47
	v_pk_add_f16 v43, v44, v45
	v_pk_fma_f16 v44, 0x34823b47, v75, v48
	v_pk_mul_f16 v45, 0xb08e3abb, v76
	v_add_f16_e32 v40, v27, v40
	v_pk_fma_f16 v49, 0x3abbbbad, v79, v88 neg_lo:[0,0,1] neg_hi:[0,0,1]
	v_bfi_b32 v42, 0xffff, v65, v42
	v_bfi_b32 v47, 0xffff, v52, v80
	v_pk_add_f16 v0, v6, v0
	v_pk_add_f16 v6, v43, v44
	v_pk_fma_f16 v43, 0x3bebb853, v78, v45
	v_pk_mul_f16 v44, 0x3abbb93d, v79
	v_add_f16_e32 v40, v28, v40
	v_pk_add_f16 v42, v42, v47
	v_pk_add_f16 v46, v46, v49
	;; [unrolled: 1-line block ×3, first 2 shown]
	v_pk_fma_f16 v48, 0x3853ba0c, v81, v44
	v_fmamk_f16 v47, v79, 0xbbad, v88
	v_pk_add_f16 v45, v0, v42
	v_alignbit_b32 v44, v82, v5, 16
	v_alignbit_b32 v43, v5, v46, 16
	v_pack_b32_f16 v42, v40, v46
	v_pk_add_f16 v0, v6, v48
	v_add_f16_e32 v6, v39, v47
	ds_store_b128 v63, v[42:45] offset:2420
	ds_store_b32 v63, v0 offset:2436
	ds_store_b16 v63, v6 offset:2440
.LBB0_17:
	s_wait_alu 0xfffe
	s_or_b32 exec_lo, exec_lo, s0
	v_mad_i32_i24 v0, 0xffffffec, v7, v63
	global_wb scope:SCOPE_SE
	s_wait_dscnt 0x0
	s_wait_kmcnt 0x0
	s_barrier_signal -1
	s_barrier_wait -1
	global_inv scope:SCOPE_SE
	ds_load_u16 v46, v0
	ds_load_u16 v47, v0 offset:220
	ds_load_u16 v48, v0 offset:440
	;; [unrolled: 1-line block ×13, first 2 shown]
	v_cmp_gt_u32_e64 s0, 55, v7
	s_delay_alu instid0(VALU_DEP_1)
	s_and_saveexec_b32 s4, s0
	s_cbranch_execz .LBB0_19
; %bb.18:
	ds_load_u16 v5, v0 offset:1540
	s_wait_dscnt 0x0
	ds_load_u16_d16_hi v5, v0 offset:3190
.LBB0_19:
	s_wait_alu 0xfffe
	s_or_b32 exec_lo, exec_lo, s4
	v_add_f16_e32 v64, v34, v62
	v_sub_f16_e32 v33, v33, v38
	v_sub_f16_e32 v31, v31, v35
	;; [unrolled: 1-line block ×3, first 2 shown]
	v_add_f16_e32 v62, v62, v55
	v_add_f16_e32 v38, v64, v61
	;; [unrolled: 1-line block ×4, first 2 shown]
	v_sub_f16_e32 v32, v32, v37
	v_mul_f16_e32 v65, 0x3853, v33
	v_add_f16_e32 v35, v38, v60
	v_mul_f16_e32 v60, 0xb482, v36
	v_pk_mul_f16 v69, 0xbb47b853, v36 op_sel_hi:[1,0]
	v_add_f16_e32 v37, v59, v58
	v_mul_f16_e32 v66, 0xba0c, v32
	v_add_f16_e32 v35, v35, v59
	v_fmamk_f16 v73, v62, 0xbbad, v60
	v_pk_mul_f16 v70, 0xba0cbb47, v33 op_sel_hi:[1,0]
	v_fmamk_f16 v74, v41, 0x3abb, v65
	v_pk_mul_f16 v71, 0x3482bbeb, v32 op_sel_hi:[1,0]
	v_add_f16_e32 v35, v35, v53
	v_add_f16_e32 v73, v73, v34
	v_fmamk_f16 v75, v61, 0xb93d, v66
	v_fma_f16 v77, v41, 0x36a6, -v70
	v_pk_mul_f16 v72, 0x3bebba0c, v31 op_sel_hi:[1,0]
	v_add_f16_e32 v35, v35, v54
	v_add_f16_e32 v53, v53, v54
	v_sub_f16_e32 v29, v29, v30
	v_mul_f16_e32 v38, 0xbbad, v62
	v_mul_f16_e32 v64, 0x3abb, v41
	v_add_f16_e32 v35, v35, v58
	v_fma_f16 v58, v62, 0x3abb, -v69
	v_pk_fma_f16 v69, 0x36a63abb, v62, v69 op_sel_hi:[1,0,1]
	v_mul_f16_e32 v59, 0xb93d, v61
	v_mul_f16_e32 v68, 0x3b47, v31
	v_add_f16_e32 v35, v35, v57
	v_pk_fma_f16 v57, 0xb93d36a6, v41, v70 op_sel_hi:[1,0,1]
	v_add_f16_e32 v58, v58, v34
	v_pk_add_f16 v69, v69, v34 op_sel_hi:[1,0]
	v_add_f16_e32 v70, v74, v73
	v_add_f16_e32 v35, v35, v56
	v_fma_f16 v56, v61, 0xb08e, -v71
	v_add_f16_e32 v58, v77, v58
	v_pk_add_f16 v57, v57, v69
	v_add_f16_e32 v69, v75, v70
	v_add_f16_e32 v70, v35, v55
	v_pk_fma_f16 v35, 0xbbadb08e, v61, v71 op_sel_hi:[1,0,1]
	v_add_f16_e32 v55, v56, v58
	v_fma_f16 v56, v37, 0xb93d, -v72
	v_pk_mul_f16 v71, 0x3beb3482, v33 op_sel_hi:[1,0]
	v_pk_mul_f16 v33, 0x3a0cb482, v33 op_sel_hi:[1,0]
	v_pk_add_f16 v30, v35, v57
	v_pk_mul_f16 v35, 0xba0cbbeb, v36 op_sel_hi:[1,0]
	v_add_f16_e32 v54, v56, v55
	v_pk_fma_f16 v55, 0xb08eb93d, v37, v72 op_sel_hi:[1,0,1]
	v_pk_mul_f16 v56, 0x3853b482, v29 op_sel_hi:[1,0]
	v_pk_mul_f16 v57, 0x3abbbbad, v53 op_sel_hi:[1,0]
	v_pk_fma_f16 v58, 0xb93db08e, v62, v35 op_sel_hi:[1,0,1]
	v_pk_mul_f16 v72, 0xb8533b47, v32 op_sel_hi:[1,0]
	v_pk_add_f16 v30, v55, v30
	v_pk_fma_f16 v55, 0x3abbbbad, v53, v56 op_sel_hi:[1,0,1]
	v_sub_f16_e32 v56, v57, v56
	v_pk_add_f16 v57, v58, v34 op_sel_hi:[1,0]
	v_pk_fma_f16 v58, 0xb08ebbad, v41, v71 op_sel_hi:[1,0,1]
	v_pk_mul_f16 v36, 0x3b473beb, v36 op_sel_hi:[1,0]
	v_pk_add_f16 v74, v55, v30
	v_add_f16_e32 v73, v56, v54
	v_pk_fma_f16 v54, 0x3abb36a6, v61, v72 op_sel_hi:[1,0,1]
	v_pk_add_f16 v30, v58, v57
	v_pk_mul_f16 v55, 0xb482b853, v31 op_sel_hi:[1,0]
	v_pk_mul_f16 v56, 0xb93db08e, v62 op_sel_hi:[1,0]
	v_pk_fma_f16 v36, 0x36a6b08e, v62, v36 op_sel_hi:[1,0,1]
	v_pk_mul_f16 v57, 0xb08ebbad, v41 op_sel_hi:[1,0]
	v_pk_add_f16 v30, v54, v30
	v_pk_fma_f16 v54, 0xbbad3abb, v37, v55 op_sel_hi:[1,0,1]
	v_pk_fma_f16 v33, 0xb93dbbad, v41, v33 op_sel_hi:[1,0,1]
	v_pk_mul_f16 v32, 0xb482bb47, v32 op_sel_hi:[1,0]
	v_bfi_b32 v35, 0xffff, v60, v35
	v_pk_mul_f16 v58, 0x3abb36a6, v61 op_sel_hi:[1,0]
	v_pk_add_f16 v54, v54, v30
	v_pk_add_f16 v30, v36, v34 op_sel_hi:[1,0]
	v_bfi_b32 v36, 0xffff, v38, v56
	v_pk_fma_f16 v32, 0xbbad36a6, v61, v32 op_sel_hi:[1,0,1]
	v_pk_mul_f16 v31, 0xbbeb3853, v31 op_sel_hi:[1,0]
	v_mul_f16_e32 v67, 0x36a6, v37
	v_pk_add_f16 v30, v33, v30
	v_pk_add_f16 v33, v36, v35 neg_lo:[0,1] neg_hi:[0,1]
	v_bfi_b32 v35, 0xffff, v64, v57
	v_bfi_b32 v36, 0xffff, v65, v71
	v_pk_fma_f16 v31, 0xb08e3abb, v37, v31 op_sel_hi:[1,0,1]
	v_pk_add_f16 v30, v32, v30
	v_pk_add_f16 v32, v33, v34 op_sel_hi:[1,0]
	v_bfi_b32 v34, 0xffff, v59, v58
	v_pk_add_f16 v33, v35, v36 neg_lo:[0,1] neg_hi:[0,1]
	v_bfi_b32 v35, 0xffff, v66, v72
	v_pk_add_f16 v56, v31, v30
	v_sub_f16_e32 v31, v25, v28
	v_pk_mul_f16 v62, 0xbbad3abb, v37 op_sel_hi:[1,0]
	v_pk_add_f16 v30, v33, v32
	v_pk_add_f16 v32, v34, v35 neg_lo:[0,1] neg_hi:[0,1]
	v_sub_f16_e32 v34, v23, v27
	v_pk_mul_f16 v28, 0xba0cbbeb, v31 op_sel_hi:[1,0]
	v_pk_mul_f16 v41, 0x3b47ba0c, v29 op_sel_hi:[1,0]
	;; [unrolled: 1-line block ×3, first 2 shown]
	v_pk_add_f16 v59, v32, v30
	v_add_f16_e32 v30, v19, v10
	v_mul_f16_e32 v58, 0xbbeb, v29
	v_bfi_b32 v23, 0xffff, v67, v62
	v_bfi_b32 v25, 0xffff, v68, v55
	v_add_f16_e32 v32, v18, v11
	v_pk_fma_f16 v29, 0xb93db08e, v30, v28 op_sel_hi:[1,0,1]
	v_pk_mul_f16 v27, 0x3beb3482, v34 op_sel_hi:[1,0]
	v_sub_f16_e32 v35, v22, v26
	v_pk_mul_f16 v38, 0x36a6b93d, v53 op_sel_hi:[1,0]
	v_mul_f16_e32 v57, 0xb08e, v53
	v_pk_add_f16 v55, v23, v25 neg_lo:[0,1] neg_hi:[0,1]
	v_add_f16_e32 v33, v17, v12
	v_pk_add_f16 v22, v9, v29 op_sel_hi:[0,1]
	v_pk_fma_f16 v23, 0xb08ebbad, v32, v27 op_sel_hi:[1,0,1]
	v_pk_mul_f16 v25, 0xb8533b47, v35 op_sel_hi:[1,0]
	v_sub_f16_e32 v29, v20, v24
	v_fmamk_f16 v76, v37, 0x36a6, v68
	v_bfi_b32 v20, 0xffff, v57, v38
	v_add_f16_e32 v26, v16, v13
	v_pk_add_f16 v23, v22, v23
	v_pk_fma_f16 v38, 0x3abb36a6, v33, v25 op_sel_hi:[1,0,1]
	v_pk_mul_f16 v24, 0xb482b853, v29 op_sel_hi:[1,0]
	v_sub_f16_e32 v22, v8, v21
	v_add_f16_e32 v69, v76, v69
	v_pk_fma_f16 v37, 0x36a6b93d, v53, v41 op_sel_hi:[1,0,1]
	v_pk_fma_f16 v36, 0x3abbb93d, v53, v36 op_sel_hi:[1,0,1]
	v_bfi_b32 v8, 0xffff, v58, v41
	v_add_f16_e32 v21, v15, v14
	v_pk_add_f16 v38, v23, v38
	v_pk_fma_f16 v41, 0xbbad3abb, v26, v24 op_sel_hi:[1,0,1]
	v_pk_mul_f16 v23, 0x3b47ba0c, v22 op_sel_hi:[1,0]
	v_fmamk_f16 v53, v53, 0xb08e, v58
	v_pk_add_f16 v55, v55, v59
	v_pk_add_f16 v8, v20, v8 neg_lo:[0,1] neg_hi:[0,1]
	v_pk_add_f16 v20, v38, v41
	v_pk_fma_f16 v38, 0x36a6b93d, v21, v23 op_sel_hi:[1,0,1]
	v_pk_add_f16 v37, v37, v54
	v_add_f16_e32 v41, v53, v69
	v_pk_add_f16 v36, v36, v56
	v_pk_add_f16 v56, v8, v55
	;; [unrolled: 1-line block ×3, first 2 shown]
	v_add_nc_u32_e32 v8, 0x6e, v7
	v_alignbit_b32 v55, v41, v37, 16
	v_alignbit_b32 v54, v37, v74, 16
	v_pack_b32_f16 v53, v70, v74
	global_wb scope:SCOPE_SE
	s_wait_dscnt 0x0
	s_barrier_signal -1
	s_barrier_wait -1
	global_inv scope:SCOPE_SE
	ds_store_b128 v63, v[53:56]
	ds_store_b32 v63, v36 offset:16
	ds_store_b16 v63, v73 offset:20
	s_and_saveexec_b32 s4, s1
	s_cbranch_execz .LBB0_21
; %bb.20:
	v_add_f16_e32 v19, v9, v19
	v_pack_b32_f16 v37, v31, v31
	v_mul_f16_e32 v31, 0xb482, v31
	v_pack_b32_f16 v36, v30, v30
	v_pack_b32_f16 v53, v33, v33
	v_add_f16_e32 v18, v19, v18
	v_pack_b32_f16 v19, v34, v34
	v_pack_b32_f16 v54, v35, v35
	v_pk_mul_f16 v58, 0xb93db08e, v30 op_sel_hi:[1,0]
	v_pk_mul_f16 v59, 0x3abb36a6, v33 op_sel_hi:[1,0]
	v_add_f16_e32 v17, v18, v17
	v_perm_b32 v38, v9, v9, 0x5040100
	v_pack_b32_f16 v41, v32, v32
	v_mul_f16_e32 v34, 0x3853, v34
	v_pk_mul_f16 v63, 0xba0cbb47, v19
	v_add_f16_e32 v16, v17, v16
	v_pack_b32_f16 v18, v29, v29
	v_pk_mul_f16 v17, 0xb08ebbad, v32 op_sel_hi:[1,0]
	v_mul_f16_e32 v62, 0x3abb, v32
	v_fmamk_f16 v32, v32, 0x3abb, v34
	v_add_f16_e32 v15, v16, v15
	v_mul_f16_e32 v16, 0xbbad, v30
	v_fmamk_f16 v30, v30, 0xbbad, v31
	v_pk_mul_f16 v64, 0x3482bbeb, v54
	v_fma_f16 v65, v41, 0x36a6, -v63
	v_add_f16_e32 v14, v15, v14
	v_mul_f16_e32 v15, 0xba0c, v35
	v_mul_f16_e32 v35, 0xb93d, v33
	v_pack_b32_f16 v55, v26, v26
	v_bfi_b32 v16, 0xffff, v16, v58
	v_add_f16_e32 v13, v13, v14
	v_fmamk_f16 v14, v33, 0xb93d, v15
	v_pk_mul_f16 v33, 0xbb47b853, v37
	v_bfi_b32 v17, 0xffff, v62, v17
	v_pack_b32_f16 v57, v22, v22
	v_add_f16_e32 v12, v12, v13
	v_add_f16_e32 v13, v9, v30
	v_fma_f16 v30, v36, 0x3abb, -v33
	v_pk_fma_f16 v33, 0x36a63abb, v36, v33
	v_pk_mul_f16 v60, 0xbbad3abb, v26 op_sel_hi:[1,0]
	v_add_f16_e32 v11, v11, v12
	v_pk_fma_f16 v12, 0xb93d36a6, v41, v63
	v_add_f16_e32 v9, v9, v30
	v_pk_add_f16 v30, v38, v33
	v_add_f16_e32 v13, v13, v32
	v_add_f16_e32 v32, v10, v11
	v_mul_f16_e32 v10, 0x3b47, v29
	v_add_f16_e32 v9, v9, v65
	v_pk_add_f16 v11, v30, v12
	v_fma_f16 v12, v53, 0xb08e, -v64
	v_pk_fma_f16 v29, 0xbbadb08e, v53, v64
	v_pk_mul_f16 v30, 0x3bebba0c, v18
	v_add_f16_e32 v13, v13, v14
	v_fmamk_f16 v14, v26, 0x36a6, v10
	v_add_f16_e32 v9, v9, v12
	v_pk_add_f16 v11, v11, v29
	v_fma_f16 v12, v55, 0xb93d, -v30
	v_pk_fma_f16 v29, 0xb08eb93d, v55, v30
	v_pk_mul_f16 v30, 0x3b473beb, v37
	v_add_f16_e32 v13, v13, v14
	v_mul_f16_e32 v26, 0x36a6, v26
	v_add_f16_e32 v14, v9, v12
	v_pk_add_f16 v9, v11, v29
	v_pk_fma_f16 v11, 0x36a6b08e, v36, v30
	v_pk_mul_f16 v12, 0x3a0cb482, v19
	v_bfi_b32 v19, 0xffff, v31, v28
	v_pk_mul_f16 v29, 0xb482bb47, v54
	v_bfi_b32 v15, 0xffff, v15, v25
	v_pk_add_f16 v11, v38, v11
	v_pk_fma_f16 v12, 0xb93dbbad, v41, v12
	v_pk_add_f16 v16, v16, v19 neg_lo:[0,1] neg_hi:[0,1]
	v_bfi_b32 v19, 0xffff, v34, v27
	v_pack_b32_f16 v56, v21, v21
	v_pk_mul_f16 v61, 0x36a6b93d, v21 op_sel_hi:[1,0]
	v_pk_add_f16 v11, v11, v12
	v_pk_fma_f16 v12, 0xbbad36a6, v53, v29
	v_pk_add_f16 v16, v38, v16
	v_pk_add_f16 v17, v17, v19 neg_lo:[0,1] neg_hi:[0,1]
	v_bfi_b32 v19, 0xffff, v35, v59
	v_pk_mul_f16 v27, 0x3853b482, v57
	v_pk_add_f16 v11, v11, v12
	v_bfi_b32 v10, 0xffff, v10, v24
	v_pk_add_f16 v12, v16, v17
	v_pk_add_f16 v15, v19, v15 neg_lo:[0,1] neg_hi:[0,1]
	v_bfi_b32 v16, 0xffff, v26, v60
	v_mul_f16_e32 v17, 0xb08e, v21
	v_mul_f16_e32 v19, 0xbbeb, v22
	v_pk_mul_f16 v18, 0xbbeb3853, v18
	v_pk_fma_f16 v25, 0x3abbbbad, v56, v27
	v_pk_add_f16 v12, v12, v15
	v_pk_add_f16 v10, v16, v10 neg_lo:[0,1] neg_hi:[0,1]
	v_bfi_b32 v15, 0xffff, v17, v61
	v_bfi_b32 v16, 0xffff, v19, v23
	v_pk_fma_f16 v17, 0xb08e3abb, v55, v18
	v_fmamk_f16 v18, v21, 0xb08e, v19
	v_pk_mul_f16 v19, 0xb8533a0c, v57
	v_pk_mul_f16 v28, 0x3abbbbad, v56
	v_pk_add_f16 v10, v12, v10
	v_pk_add_f16 v12, v15, v16 neg_lo:[0,1] neg_hi:[0,1]
	v_pk_add_f16 v9, v9, v25
	v_add_f16_e32 v13, v13, v18
	v_pk_add_f16 v15, v11, v17
	v_pk_fma_f16 v16, 0x3abbb93d, v56, v19
	v_sub_f16_e32 v27, v28, v27
	v_pk_add_f16 v12, v10, v12
	v_mad_u32_u24 v17, v8, 22, 0
	v_alignbit_b32 v11, v13, v20, 16
	v_alignbit_b32 v10, v20, v9, 16
	v_pack_b32_f16 v9, v32, v9
	v_pk_add_f16 v13, v15, v16
	v_add_f16_e32 v14, v14, v27
	ds_store_b128 v17, v[9:12]
	ds_store_b32 v17, v13 offset:16
	ds_store_b16 v17, v14 offset:20
.LBB0_21:
	s_wait_alu 0xfffe
	s_or_b32 exec_lo, exec_lo, s4
	global_wb scope:SCOPE_SE
	s_wait_dscnt 0x0
	s_barrier_signal -1
	s_barrier_wait -1
	global_inv scope:SCOPE_SE
	ds_load_u16 v17, v0
	ds_load_u16 v12, v0 offset:220
	ds_load_u16 v13, v0 offset:440
	;; [unrolled: 1-line block ×13, first 2 shown]
	s_and_saveexec_b32 s1, s0
	s_cbranch_execz .LBB0_23
; %bb.22:
	ds_load_u16 v20, v0 offset:1540
	s_wait_dscnt 0x0
	ds_load_u16_d16_hi v20, v0 offset:3190
.LBB0_23:
	s_wait_alu 0xfffe
	s_or_b32 exec_lo, exec_lo, s1
	v_and_b32_e32 v10, 0xff, v7
	v_and_b32_e32 v11, 0xff, v8
	v_add_nc_u32_e32 v9, 0xdc, v7
	v_add_nc_u32_e32 v26, 0x14a, v7
	;; [unrolled: 1-line block ×3, first 2 shown]
	v_mul_lo_u16 v10, 0x75, v10
	v_mul_lo_u16 v28, 0x75, v11
	v_add_nc_u32_e32 v29, 0x226, v7
	v_add_nc_u32_e32 v34, 0x294, v7
	;; [unrolled: 1-line block ×3, first 2 shown]
	v_lshrrev_b16 v35, 8, v10
	v_lshrrev_b16 v28, 8, v28
	v_and_b32_e32 v10, 0xffff, v9
	v_and_b32_e32 v31, 0xffff, v26
	;; [unrolled: 1-line block ×3, first 2 shown]
	v_sub_nc_u16 v30, v7, v35
	v_sub_nc_u16 v32, v8, v28
	v_and_b32_e32 v38, 0xffff, v29
	v_and_b32_e32 v41, 0xffff, v34
	;; [unrolled: 1-line block ×3, first 2 shown]
	v_lshrrev_b16 v53, 1, v30
	v_lshrrev_b16 v32, 1, v32
	v_mul_u32_u24_e32 v30, 0xba2f, v10
	v_mul_u32_u24_e32 v31, 0xba2f, v31
	s_delay_alu instid0(VALU_DEP_4) | instskip(NEXT) | instid1(VALU_DEP_4)
	v_and_b32_e32 v53, 0x7f, v53
	v_and_b32_e32 v55, 0x7f, v32
	s_delay_alu instid0(VALU_DEP_4)
	v_lshrrev_b32_e32 v56, 19, v30
	v_mul_u32_u24_e32 v32, 0xba2f, v37
	v_mul_u32_u24_e32 v37, 0xba2f, v38
	v_add_nc_u16 v35, v53, v35
	v_add_nc_u16 v28, v55, v28
	v_mul_u32_u24_e32 v38, 0xba2f, v41
	v_mul_u32_u24_e32 v41, 0xba2f, v54
	v_lshrrev_b32_e32 v58, 19, v31
	v_lshrrev_b16 v59, 3, v35
	v_lshrrev_b16 v60, 3, v28
	v_mul_lo_u16 v28, v56, 11
	v_lshrrev_b32_e32 v61, 19, v32
	v_lshrrev_b32_e32 v37, 19, v37
	v_mul_lo_u16 v35, v59, 11
	v_mul_lo_u16 v53, v60, 11
	v_sub_nc_u16 v28, v9, v28
	v_lshrrev_b32_e32 v38, 19, v38
	v_lshrrev_b32_e32 v62, 19, v41
	v_sub_nc_u16 v35, v7, v35
	v_sub_nc_u16 v41, v8, v53
	v_mul_lo_u16 v53, v58, 11
	v_mul_lo_u16 v54, v61, 11
	v_and_b32_e32 v63, 0xffff, v28
	v_mul_lo_u16 v28, v37, 11
	v_and_b32_e32 v64, 0xff, v35
	v_mul_lo_u16 v35, v38, 11
	v_mul_lo_u16 v57, v62, 11
	v_sub_nc_u16 v53, v26, v53
	v_sub_nc_u16 v54, v27, v54
	;; [unrolled: 1-line block ×5, first 2 shown]
	v_and_b32_e32 v65, 0xff, v41
	v_and_b32_e32 v67, 0xffff, v53
	;; [unrolled: 1-line block ×4, first 2 shown]
	v_lshlrev_b32_e32 v55, 2, v64
	v_and_b32_e32 v70, 0xffff, v29
	v_and_b32_e32 v71, 0xffff, v34
	v_lshlrev_b32_e32 v66, 2, v65
	v_lshlrev_b32_e32 v41, 2, v63
	;; [unrolled: 1-line block ×7, first 2 shown]
	s_clause 0x7
	global_load_b32 v57, v55, s[8:9]
	global_load_b32 v54, v66, s[8:9]
	;; [unrolled: 1-line block ×8, first 2 shown]
	v_mul_u32_u24_e32 v66, 44, v61
	v_lshlrev_b32_e32 v61, 1, v63
	v_lshlrev_b32_e32 v63, 1, v68
	;; [unrolled: 1-line block ×3, first 2 shown]
	v_and_b32_e32 v70, 0xffff, v60
	v_mul_u32_u24_e32 v58, 44, v58
	v_mul_u32_u24_e32 v72, 44, v37
	v_mul_lo_u16 v37, v62, 22
	v_lshlrev_b32_e32 v62, 1, v67
	v_lshlrev_b32_e32 v67, 1, v69
	v_and_b32_e32 v69, 0xffff, v59
	v_mul_u32_u24_e32 v56, 44, v56
	v_mul_u32_u24_e32 v73, 44, v38
	v_lshlrev_b32_e32 v38, 1, v71
	v_add3_u32 v59, 0, v66, v63
	v_mul_u32_u24_e32 v63, 44, v70
	v_lshlrev_b32_e32 v65, 1, v65
	v_add3_u32 v60, 0, v58, v62
	v_mul_u32_u24_e32 v62, 44, v69
	v_add3_u32 v61, 0, v56, v61
	v_add3_u32 v58, 0, v72, v67
	;; [unrolled: 1-line block ×4, first 2 shown]
	v_lshlrev_b32_e32 v64, 1, v64
	s_wait_dscnt 0x0
	v_lshrrev_b32_e32 v35, 16, v20
	v_lshrrev_b32_e32 v36, 16, v5
	global_wb scope:SCOPE_SE
	s_wait_loadcnt 0x0
	s_barrier_signal -1
	v_add3_u32 v64, 0, v62, v64
	s_barrier_wait -1
	global_inv scope:SCOPE_SE
	v_lshrrev_b32_e32 v71, 16, v57
	v_lshrrev_b32_e32 v70, 16, v54
	;; [unrolled: 1-line block ×7, first 2 shown]
	v_mul_f16_e32 v72, v25, v71
	v_mul_f16_e32 v73, v23, v70
	v_mul_f16_e32 v74, v24, v69
	v_mul_f16_e32 v75, v18, v68
	v_mul_f16_e32 v76, v19, v67
	v_mul_f16_e32 v77, v21, v66
	v_mul_f16_e32 v78, v22, v65
	v_fma_f16 v72, v44, v57, -v72
	v_fma_f16 v73, v45, v54, -v73
	;; [unrolled: 1-line block ×7, first 2 shown]
	v_sub_f16_e32 v72, v46, v72
	v_sub_f16_e32 v73, v47, v73
	;; [unrolled: 1-line block ×3, first 2 shown]
	v_lshrrev_b32_e32 v62, 16, v34
	v_sub_f16_e32 v75, v49, v75
	v_sub_f16_e32 v76, v50, v76
	;; [unrolled: 1-line block ×4, first 2 shown]
	v_fma_f16 v46, v46, 2.0, -v72
	v_fma_f16 v47, v47, 2.0, -v73
	;; [unrolled: 1-line block ×7, first 2 shown]
	ds_store_b16 v64, v46
	ds_store_b16 v64, v72 offset:22
	ds_store_b16 v63, v47
	ds_store_b16 v63, v73 offset:22
	;; [unrolled: 2-line block ×7, first 2 shown]
	s_and_saveexec_b32 s1, s0
	s_cbranch_execz .LBB0_25
; %bb.24:
	v_mul_f16_e32 v46, v35, v62
	v_and_b32_e32 v47, 0xffff, v37
	s_delay_alu instid0(VALU_DEP_2) | instskip(NEXT) | instid1(VALU_DEP_2)
	v_fma_f16 v46, v36, v34, -v46
	v_lshlrev_b32_e32 v47, 1, v47
	s_delay_alu instid0(VALU_DEP_2) | instskip(NEXT) | instid1(VALU_DEP_2)
	v_sub_f16_e32 v46, v5, v46
	v_add3_u32 v47, 0, v38, v47
	s_delay_alu instid0(VALU_DEP_2)
	v_fma_f16 v5, v5, 2.0, -v46
	ds_store_b16 v47, v5
	ds_store_b16 v47, v46 offset:22
.LBB0_25:
	s_wait_alu 0xfffe
	s_or_b32 exec_lo, exec_lo, s1
	v_mul_f16_e32 v5, v44, v71
	v_mul_f16_e32 v44, v45, v70
	;; [unrolled: 1-line block ×5, first 2 shown]
	v_fmac_f16_e32 v5, v25, v57
	v_mul_f16_e32 v25, v39, v66
	v_fmac_f16_e32 v44, v23, v54
	v_fmac_f16_e32 v43, v24, v55
	v_fmac_f16_e32 v42, v18, v28
	v_fmac_f16_e32 v40, v19, v29
	v_fmac_f16_e32 v25, v21, v41
	v_mul_f16_e32 v6, v6, v65
	v_sub_f16_e32 v5, v17, v5
	v_sub_f16_e32 v41, v12, v44
	;; [unrolled: 1-line block ×6, first 2 shown]
	v_fmac_f16_e32 v6, v22, v53
	v_fma_f16 v39, v17, 2.0, -v5
	v_fma_f16 v45, v12, 2.0, -v41
	;; [unrolled: 1-line block ×6, first 2 shown]
	global_wb scope:SCOPE_SE
	s_wait_dscnt 0x0
	s_barrier_signal -1
	s_barrier_wait -1
	global_inv scope:SCOPE_SE
	ds_load_u16 v18, v0 offset:1320
	ds_load_u16 v17, v0 offset:1540
	ds_load_u16 v16, v0
	ds_load_u16 v15, v0 offset:220
	ds_load_u16 v13, v0 offset:440
	;; [unrolled: 1-line block ×12, first 2 shown]
	v_sub_f16_e32 v6, v33, v6
	global_wb scope:SCOPE_SE
	s_wait_dscnt 0x0
	s_barrier_signal -1
	s_barrier_wait -1
	global_inv scope:SCOPE_SE
	v_fma_f16 v33, v33, 2.0, -v6
	ds_store_b16 v64, v39
	ds_store_b16 v64, v5 offset:22
	ds_store_b16 v63, v45
	ds_store_b16 v63, v41 offset:22
	;; [unrolled: 2-line block ×7, first 2 shown]
	s_and_saveexec_b32 s1, s0
	s_cbranch_execz .LBB0_27
; %bb.26:
	v_mul_f16_e32 v5, v36, v62
	v_and_b32_e32 v6, 0xffff, v37
	s_delay_alu instid0(VALU_DEP_2) | instskip(NEXT) | instid1(VALU_DEP_2)
	v_fmac_f16_e32 v5, v35, v34
	v_lshlrev_b32_e32 v6, 1, v6
	s_delay_alu instid0(VALU_DEP_2) | instskip(NEXT) | instid1(VALU_DEP_2)
	v_sub_f16_e32 v5, v20, v5
	v_add3_u32 v6, 0, v38, v6
	s_delay_alu instid0(VALU_DEP_2)
	v_fma_f16 v20, v20, 2.0, -v5
	ds_store_b16 v6, v20
	ds_store_b16 v6, v5 offset:22
.LBB0_27:
	s_wait_alu 0xfffe
	s_or_b32 exec_lo, exec_lo, s1
	v_lshrrev_b16 v5, 1, v7
	v_lshrrev_b32_e32 v20, 20, v32
	v_lshrrev_b16 v32, 1, v11
	v_lshrrev_b32_e32 v41, 20, v31
	global_wb scope:SCOPE_SE
	s_wait_dscnt 0x0
	v_and_b32_e32 v5, 0x7f, v5
	v_mul_lo_u16 v6, v20, 22
	s_barrier_signal -1
	v_mul_lo_u16 v34, v41, 22
	s_barrier_wait -1
	v_mul_lo_u16 v5, 0xbb, v5
	v_sub_nc_u16 v6, v27, v6
	v_mul_lo_u16 v27, 0xbb, v32
	global_inv scope:SCOPE_SE
	v_add_nc_u32_e32 v61, 0xffffffbe, v7
	v_lshrrev_b16 v38, 11, v5
	v_and_b32_e32 v39, 0xffff, v6
	v_lshrrev_b16 v40, 11, v27
	v_lshrrev_b32_e32 v5, 20, v30
	v_cmp_gt_u32_e64 s0, 0x42, v7
	v_mul_lo_u16 v6, v38, 22
	v_lshlrev_b32_e32 v27, 3, v39
	v_mul_lo_u16 v32, v40, 22
	v_mul_lo_u16 v33, v5, 22
	s_wait_alu 0xf1ff
	v_cndmask_b32_e64 v61, v61, v7, s0
	v_sub_nc_u16 v6, v7, v6
	global_load_b64 v[30:31], v27, s[8:9] offset:44
	v_sub_nc_u16 v27, v8, v32
	v_sub_nc_u16 v32, v9, v33
	v_mul_lo_u16 v11, 0xf9, v11
	v_and_b32_e32 v42, 0xff, v6
	v_sub_nc_u16 v6, v26, v34
	v_and_b32_e32 v43, 0xff, v27
	v_and_b32_e32 v44, 0xffff, v32
	v_mul_u32_u24_e32 v10, 0xf83f, v10
	v_lshlrev_b32_e32 v26, 3, v42
	v_and_b32_e32 v45, 0xffff, v6
	v_lshlrev_b32_e32 v6, 3, v43
	v_lshlrev_b32_e32 v34, 3, v44
	v_mul_u32_u24_e32 v64, 0x84, v5
	global_load_b64 v[26:27], v26, s[8:9] offset:44
	v_lshlrev_b32_e32 v36, 3, v45
	v_lshlrev_b32_e32 v5, 2, v61
	s_clause 0x2
	global_load_b64 v[32:33], v6, s[8:9] offset:44
	global_load_b64 v[34:35], v34, s[8:9] offset:44
	;; [unrolled: 1-line block ×3, first 2 shown]
	v_mov_b32_e32 v6, 0
	ds_load_u16 v46, v0 offset:1320
	ds_load_u16 v47, v0 offset:1540
	ds_load_u16 v48, v0
	ds_load_u16 v49, v0 offset:220
	ds_load_u16 v50, v0 offset:440
	;; [unrolled: 1-line block ×12, first 2 shown]
	v_lshrrev_b16 v62, 14, v11
	v_lshrrev_b32_e32 v63, 22, v10
	v_and_b32_e32 v40, 0xffff, v40
	v_lshlrev_b64_e32 v[10:11], 2, v[5:6]
	v_and_b32_e32 v67, 0xffff, v38
	v_mul_lo_u16 v65, 0x42, v62
	v_mul_lo_u16 v66, 0x42, v63
	v_mul_u32_u24_e32 v40, 0x84, v40
	v_mul_u32_u24_e32 v41, 0x84, v41
	v_add_co_u32 v38, s0, s8, v10
	v_lshlrev_b32_e32 v10, 1, v43
	v_sub_nc_u16 v5, v8, v65
	v_sub_nc_u16 v65, v9, v66
	v_lshlrev_b32_e32 v44, 1, v44
	v_lshlrev_b32_e32 v45, 1, v45
	;; [unrolled: 1-line block ×3, first 2 shown]
	s_wait_alu 0xf1ff
	v_add_co_ci_u32_e64 v39, s0, s9, v11, s0
	v_lshlrev_b32_e32 v11, 1, v42
	v_add3_u32 v40, 0, v40, v10
	v_mul_u32_u24_e32 v20, 0x84, v20
	v_and_b32_e32 v68, 0xff, v5
	v_mul_u32_u24_e32 v5, 0x84, v67
	v_add3_u32 v44, 0, v64, v44
	v_add3_u32 v41, 0, v41, v45
	;; [unrolled: 1-line block ×3, first 2 shown]
	v_and_b32_e32 v65, 0xffff, v65
	v_add3_u32 v66, 0, v5, v11
	v_lshlrev_b32_e32 v43, 4, v68
	global_wb scope:SCOPE_SE
	s_wait_loadcnt_dscnt 0x0
	s_barrier_signal -1
	s_barrier_wait -1
	global_inv scope:SCOPE_SE
	v_cmp_lt_u32_e64 s0, 0x41, v7
	v_lshrrev_b32_e32 v10, 16, v30
	v_lshrrev_b32_e32 v42, 16, v31
	s_delay_alu instid0(VALU_DEP_2) | instskip(SKIP_1) | instid1(VALU_DEP_3)
	v_mul_f16_e32 v45, v60, v10
	v_mul_f16_e32 v10, v29, v10
	v_mul_f16_e32 v64, v58, v42
	v_mul_f16_e32 v42, v28, v42
	s_delay_alu instid0(VALU_DEP_4) | instskip(NEXT) | instid1(VALU_DEP_4)
	v_fma_f16 v5, v29, v30, -v45
	v_fmac_f16_e32 v10, v60, v30
	s_delay_alu instid0(VALU_DEP_4) | instskip(NEXT) | instid1(VALU_DEP_4)
	v_fma_f16 v11, v28, v31, -v64
	v_fmac_f16_e32 v42, v58, v31
	v_lshrrev_b32_e32 v28, 16, v26
	v_lshrrev_b32_e32 v29, 16, v27
	;; [unrolled: 1-line block ×8, first 2 shown]
	v_sub_f16_e32 v70, v10, v42
	v_add_f16_e32 v71, v54, v10
	v_add_f16_e32 v10, v10, v42
	v_mul_f16_e32 v72, v53, v28
	v_mul_f16_e32 v28, v24, v28
	v_mul_f16_e32 v73, v59, v29
	v_mul_f16_e32 v29, v25, v29
	v_mul_f16_e32 v74, v46, v30
	v_mul_f16_e32 v30, v18, v30
	v_mul_f16_e32 v75, v55, v31
	v_mul_f16_e32 v31, v23, v31
	v_mul_f16_e32 v76, v47, v45
	v_mul_f16_e32 v45, v17, v45
	v_mul_f16_e32 v77, v56, v58
	v_mul_f16_e32 v58, v22, v58
	v_mul_f16_e32 v78, v52, v60
	v_mul_f16_e32 v60, v19, v60
	v_mul_f16_e32 v79, v57, v64
	v_mul_f16_e32 v64, v21, v64
	v_fmac_f16_e32 v54, -0.5, v10
	v_fma_f16 v10, v24, v26, -v72
	v_fmac_f16_e32 v28, v53, v26
	v_fma_f16 v24, v25, v27, -v73
	v_fmac_f16_e32 v29, v59, v27
	;; [unrolled: 2-line block ×4, first 2 shown]
	v_add_f16_e32 v67, v14, v5
	v_add_f16_e32 v69, v5, v11
	v_sub_f16_e32 v5, v5, v11
	v_fma_f16 v17, v17, v34, -v76
	v_fmac_f16_e32 v45, v47, v34
	v_fma_f16 v22, v22, v35, -v77
	v_fmac_f16_e32 v58, v56, v35
	;; [unrolled: 2-line block ×4, first 2 shown]
	v_add_f16_e32 v27, v10, v24
	v_sub_f16_e32 v32, v28, v29
	v_add_f16_e32 v33, v48, v28
	v_add_f16_e32 v28, v28, v29
	;; [unrolled: 1-line block ×3, first 2 shown]
	v_sub_f16_e32 v36, v30, v31
	v_add_f16_e32 v37, v49, v30
	v_add_f16_e32 v30, v30, v31
	v_fmamk_f16 v26, v5, 0xbaee, v54
	v_fmac_f16_e32 v54, 0x3aee, v5
	v_add_f16_e32 v5, v16, v10
	v_add_f16_e32 v47, v17, v22
	v_sub_f16_e32 v52, v45, v58
	v_add_f16_e32 v53, v50, v45
	v_add_f16_e32 v45, v45, v58
	;; [unrolled: 1-line block ×3, first 2 shown]
	v_sub_f16_e32 v57, v60, v64
	v_add_f16_e32 v59, v51, v60
	v_add_f16_e32 v60, v60, v64
	v_sub_f16_e32 v10, v10, v24
	v_fmac_f16_e32 v16, -0.5, v27
	v_fmac_f16_e32 v48, -0.5, v28
	v_add_f16_e32 v34, v15, v18
	v_fmac_f16_e32 v14, -0.5, v69
	v_sub_f16_e32 v18, v18, v23
	v_fmac_f16_e32 v15, -0.5, v35
	v_fmac_f16_e32 v49, -0.5, v30
	v_add_f16_e32 v46, v13, v17
	v_sub_f16_e32 v17, v17, v22
	v_add_f16_e32 v55, v12, v19
	v_sub_f16_e32 v19, v19, v21
	v_add_f16_e32 v5, v5, v24
	v_add_f16_e32 v24, v33, v29
	v_fmac_f16_e32 v13, -0.5, v47
	v_fmac_f16_e32 v50, -0.5, v45
	;; [unrolled: 1-line block ×4, first 2 shown]
	v_add_f16_e32 v27, v37, v31
	v_fmamk_f16 v30, v32, 0x3aee, v16
	v_fmamk_f16 v31, v10, 0xbaee, v48
	v_fmac_f16_e32 v16, 0xbaee, v32
	v_fmac_f16_e32 v48, 0x3aee, v10
	v_add_f16_e32 v23, v34, v23
	v_add_f16_e32 v11, v67, v11
	v_fmamk_f16 v25, v70, 0x3aee, v14
	v_fmamk_f16 v10, v36, 0x3aee, v15
	;; [unrolled: 1-line block ×3, first 2 shown]
	v_add_f16_e32 v42, v71, v42
	v_fmac_f16_e32 v14, 0xbaee, v70
	v_add_f16_e32 v22, v46, v22
	v_add_f16_e32 v28, v53, v58
	;; [unrolled: 1-line block ×4, first 2 shown]
	v_fmac_f16_e32 v15, 0xbaee, v36
	v_fmac_f16_e32 v49, 0x3aee, v18
	v_fmamk_f16 v18, v52, 0x3aee, v13
	v_fmac_f16_e32 v13, 0xbaee, v52
	v_fmamk_f16 v33, v17, 0xbaee, v50
	;; [unrolled: 2-line block ×4, first 2 shown]
	v_fmac_f16_e32 v51, 0x3aee, v19
	ds_store_b16 v66, v5
	ds_store_b16 v66, v30 offset:44
	ds_store_b16 v66, v16 offset:88
	ds_store_b16 v40, v23
	ds_store_b16 v40, v10 offset:44
	ds_store_b16 v40, v15 offset:88
	;; [unrolled: 3-line block ×5, first 2 shown]
	global_wb scope:SCOPE_SE
	s_wait_dscnt 0x0
	s_barrier_signal -1
	s_barrier_wait -1
	global_inv scope:SCOPE_SE
	ds_load_u16 v11, v0
	ds_load_u16 v5, v0 offset:220
	ds_load_u16 v25, v0 offset:880
	;; [unrolled: 1-line block ×14, first 2 shown]
	global_wb scope:SCOPE_SE
	s_wait_dscnt 0x0
	s_barrier_signal -1
	s_barrier_wait -1
	global_inv scope:SCOPE_SE
	ds_store_b16 v66, v24
	ds_store_b16 v66, v31 offset:44
	ds_store_b16 v66, v48 offset:88
	ds_store_b16 v40, v27
	ds_store_b16 v40, v32 offset:44
	ds_store_b16 v40, v49 offset:88
	;; [unrolled: 3-line block ×5, first 2 shown]
	v_lshlrev_b32_e32 v20, 4, v65
	global_wb scope:SCOPE_SE
	s_wait_dscnt 0x0
	s_barrier_signal -1
	s_barrier_wait -1
	global_inv scope:SCOPE_SE
	s_clause 0x2
	global_load_b128 v[12:15], v[38:39], off offset:220
	global_load_b128 v[16:19], v43, s[8:9] offset:220
	global_load_b128 v[20:23], v20, s[8:9] offset:220
	v_and_b32_e32 v24, 0xffff, v62
	s_wait_alu 0xf1ff
	v_cndmask_b32_e64 v26, 0, 0x294, s0
	v_lshlrev_b32_e32 v27, 1, v61
	v_mul_u32_u24_e32 v28, 0x294, v63
	v_lshlrev_b32_e32 v29, 1, v68
	v_mul_u32_u24_e32 v24, 0x294, v24
	v_lshlrev_b32_e32 v31, 1, v65
	v_add3_u32 v26, 0, v26, v27
	s_delay_alu instid0(VALU_DEP_3) | instskip(NEXT) | instid1(VALU_DEP_3)
	v_add3_u32 v27, 0, v24, v29
	v_add3_u32 v28, 0, v28, v31
	ds_load_u16 v29, v0
	ds_load_u16 v31, v0 offset:220
	ds_load_u16 v24, v0 offset:880
	;; [unrolled: 1-line block ×14, first 2 shown]
	global_wb scope:SCOPE_SE
	s_wait_loadcnt_dscnt 0x0
	s_barrier_signal -1
	s_barrier_wait -1
	global_inv scope:SCOPE_SE
	v_lshrrev_b32_e32 v50, 16, v12
	v_lshrrev_b32_e32 v51, 16, v13
	;; [unrolled: 1-line block ×12, first 2 shown]
	v_mul_f16_e32 v66, v39, v50
	v_mul_f16_e32 v50, v45, v50
	;; [unrolled: 1-line block ×24, first 2 shown]
	v_fma_f16 v45, v45, v12, -v66
	v_fmac_f16_e32 v50, v39, v12
	v_fma_f16 v12, v36, v13, -v67
	v_fmac_f16_e32 v51, v34, v13
	;; [unrolled: 2-line block ×12, first 2 shown]
	v_add_f16_e32 v23, v11, v45
	v_add_f16_e32 v24, v12, v13
	;; [unrolled: 1-line block ×3, first 2 shown]
	v_sub_f16_e32 v32, v45, v12
	v_sub_f16_e32 v33, v14, v13
	v_add_f16_e32 v37, v29, v50
	v_add_f16_e32 v47, v5, v15
	;; [unrolled: 1-line block ×7, first 2 shown]
	v_sub_f16_e32 v25, v50, v57
	v_sub_f16_e32 v35, v12, v45
	;; [unrolled: 1-line block ×3, first 2 shown]
	v_add_f16_e32 v12, v23, v12
	v_fma_f16 v23, -0.5, v24, v11
	v_sub_f16_e32 v30, v51, v54
	v_sub_f16_e32 v36, v13, v14
	;; [unrolled: 1-line block ×6, first 2 shown]
	v_add_f16_e32 v67, v31, v58
	v_sub_f16_e32 v70, v58, v59
	v_add_f16_e32 v72, v58, v61
	v_sub_f16_e32 v58, v59, v58
	v_sub_f16_e32 v73, v60, v61
	v_fmac_f16_e32 v11, -0.5, v34
	v_add_f16_e32 v38, v51, v54
	v_sub_f16_e32 v42, v50, v51
	v_sub_f16_e32 v43, v57, v54
	v_add_f16_e32 v44, v50, v57
	v_sub_f16_e32 v52, v15, v16
	v_sub_f16_e32 v56, v16, v15
	;; [unrolled: 1-line block ×3, first 2 shown]
	v_add_f16_e32 v68, v59, v60
	v_sub_f16_e32 v69, v16, v17
	v_sub_f16_e32 v76, v62, v65
	;; [unrolled: 1-line block ×6, first 2 shown]
	v_add_f16_e32 v24, v32, v33
	v_add_f16_e32 v33, v37, v51
	;; [unrolled: 1-line block ×3, first 2 shown]
	v_fma_f16 v37, -0.5, v48, v5
	v_add_f16_e32 v20, v74, v20
	v_fma_f16 v47, -0.5, v75, v10
	v_fmac_f16_e32 v10, -0.5, v80
	v_sub_f16_e32 v50, v59, v60
	v_sub_f16_e32 v53, v18, v17
	v_add_f16_e32 v83, v40, v62
	v_add_f16_e32 v84, v63, v64
	v_sub_f16_e32 v86, v62, v63
	v_add_f16_e32 v88, v62, v65
	v_sub_f16_e32 v62, v63, v62
	v_sub_f16_e32 v89, v64, v65
	v_fmac_f16_e32 v5, -0.5, v55
	v_add_f16_e32 v12, v12, v13
	v_fmamk_f16 v13, v25, 0x3b9c, v23
	v_add_f16_e32 v32, v35, v36
	v_add_f16_e32 v36, v45, v46
	;; [unrolled: 1-line block ×3, first 2 shown]
	v_fmamk_f16 v58, v30, 0xbb9c, v11
	v_fmac_f16_e32 v11, 0x3b9c, v30
	v_sub_f16_e32 v79, v22, v21
	v_sub_f16_e32 v82, v21, v22
	v_fma_f16 v34, -0.5, v38, v29
	v_add_f16_e32 v35, v42, v43
	v_fmac_f16_e32 v29, -0.5, v44
	v_add_f16_e32 v42, v56, v66
	v_fma_f16 v44, -0.5, v68, v31
	v_fmac_f16_e32 v31, -0.5, v72
	v_fmac_f16_e32 v23, 0xbb9c, v25
	v_add_f16_e32 v16, v16, v17
	v_fmamk_f16 v17, v49, 0x3b9c, v37
	v_add_f16_e32 v20, v20, v21
	v_fmamk_f16 v21, v76, 0x3b9c, v47
	v_fmamk_f16 v66, v77, 0xbb9c, v10
	v_fmac_f16_e32 v10, 0x3b9c, v77
	v_add_f16_e32 v38, v52, v53
	v_fma_f16 v53, -0.5, v84, v40
	v_fmac_f16_e32 v40, -0.5, v88
	v_add_f16_e32 v56, v62, v89
	v_fmac_f16_e32 v37, 0xbb9c, v49
	v_fmamk_f16 v62, v50, 0xbb9c, v5
	v_fmac_f16_e32 v5, 0x3b9c, v50
	v_fmac_f16_e32 v47, 0xbb9c, v76
	;; [unrolled: 1-line block ×5, first 2 shown]
	v_sub_f16_e32 v15, v15, v18
	v_add_f16_e32 v43, v67, v59
	v_add_f16_e32 v48, v78, v79
	;; [unrolled: 1-line block ×4, first 2 shown]
	v_fmamk_f16 v63, v69, 0x3b9c, v31
	v_fmac_f16_e32 v31, 0xbb9c, v69
	v_fmac_f16_e32 v23, 0xb8b4, v30
	;; [unrolled: 1-line block ×5, first 2 shown]
	v_sub_f16_e32 v19, v19, v22
	v_fmamk_f16 v67, v85, 0x3b9c, v40
	v_fmac_f16_e32 v40, 0xbb9c, v85
	v_add_f16_e32 v12, v12, v14
	v_fmac_f16_e32 v37, 0xb8b4, v50
	v_fmac_f16_e32 v62, 0x38b4, v49
	v_fmac_f16_e32 v5, 0xb8b4, v49
	v_fmac_f16_e32 v47, 0xb8b4, v77
	v_fmac_f16_e32 v66, 0x38b4, v76
	v_fmac_f16_e32 v13, 0x34f2, v24
	v_fmac_f16_e32 v58, 0x34f2, v32
	v_fmac_f16_e32 v11, 0x34f2, v32
	v_sub_f16_e32 v71, v61, v60
	v_add_f16_e32 v43, v43, v60
	v_fmamk_f16 v60, v15, 0xbb9c, v44
	v_fmac_f16_e32 v44, 0x3b9c, v15
	v_add_f16_e32 v14, v16, v18
	v_fmac_f16_e32 v63, 0xb8b4, v15
	v_fmac_f16_e32 v31, 0x38b4, v15
	v_add_f16_e32 v15, v20, v22
	v_fmac_f16_e32 v23, 0x34f2, v24
	v_fmac_f16_e32 v17, 0x34f2, v38
	;; [unrolled: 1-line block ×4, first 2 shown]
	v_sub_f16_e32 v87, v65, v64
	v_add_f16_e32 v52, v52, v64
	v_fmamk_f16 v64, v19, 0xbb9c, v53
	v_fmac_f16_e32 v53, 0x3b9c, v19
	v_fmac_f16_e32 v67, 0xb8b4, v19
	;; [unrolled: 1-line block ×8, first 2 shown]
	ds_store_b16 v26, v12
	ds_store_b16 v26, v13 offset:132
	ds_store_b16 v26, v58 offset:264
	ds_store_b16 v26, v11 offset:396
	ds_store_b16 v26, v23 offset:528
	ds_store_b16 v27, v14
	ds_store_b16 v27, v17 offset:132
	ds_store_b16 v27, v62 offset:264
	ds_store_b16 v27, v5 offset:396
	ds_store_b16 v27, v37 offset:528
	;; [unrolled: 5-line block ×3, first 2 shown]
	global_wb scope:SCOPE_SE
	s_wait_dscnt 0x0
	s_barrier_signal -1
	s_barrier_wait -1
	global_inv scope:SCOPE_SE
	ds_load_u16 v10, v0
	ds_load_u16 v11, v0 offset:220
	ds_load_u16 v17, v0 offset:880
	;; [unrolled: 1-line block ×14, first 2 shown]
	v_add_f16_e32 v33, v33, v54
	v_fmamk_f16 v54, v39, 0xbb9c, v34
	v_fmamk_f16 v59, v41, 0x3b9c, v29
	v_fmac_f16_e32 v29, 0xbb9c, v41
	v_fmac_f16_e32 v34, 0x3b9c, v39
	v_add_f16_e32 v45, v70, v71
	v_fmac_f16_e32 v54, 0xb8b4, v41
	v_fmac_f16_e32 v59, 0xb8b4, v39
	v_fmac_f16_e32 v29, 0x38b4, v39
	v_fmac_f16_e32 v34, 0x38b4, v41
	v_add_f16_e32 v55, v86, v87
	v_add_f16_e32 v25, v33, v57
	v_fmac_f16_e32 v60, 0xb8b4, v69
	v_fmac_f16_e32 v44, 0x38b4, v69
	;; [unrolled: 1-line block ×8, first 2 shown]
	v_add_f16_e32 v30, v43, v61
	v_add_f16_e32 v33, v52, v65
	v_fmac_f16_e32 v60, 0x34f2, v45
	v_fmac_f16_e32 v44, 0x34f2, v45
	;; [unrolled: 1-line block ×8, first 2 shown]
	global_wb scope:SCOPE_SE
	s_wait_dscnt 0x0
	s_barrier_signal -1
	s_barrier_wait -1
	global_inv scope:SCOPE_SE
	ds_store_b16 v26, v25
	ds_store_b16 v26, v54 offset:132
	ds_store_b16 v26, v59 offset:264
	ds_store_b16 v26, v29 offset:396
	ds_store_b16 v26, v34 offset:528
	ds_store_b16 v27, v30
	ds_store_b16 v27, v60 offset:132
	ds_store_b16 v27, v63 offset:264
	ds_store_b16 v27, v31 offset:396
	ds_store_b16 v27, v44 offset:528
	;; [unrolled: 5-line block ×3, first 2 shown]
	global_wb scope:SCOPE_SE
	s_wait_dscnt 0x0
	s_barrier_signal -1
	s_barrier_wait -1
	global_inv scope:SCOPE_SE
	s_and_saveexec_b32 s0, vcc_lo
	s_cbranch_execz .LBB0_29
; %bb.28:
	v_lshlrev_b32_e32 v5, 2, v9
	v_add_nc_u32_e32 v40, 0x6e, v7
	v_mul_lo_u32 v37, s2, v4
	v_add_nc_u32_e32 v42, 0xdc, v7
	v_mov_b32_e32 v38, v6
	v_lshlrev_b64_e32 v[25:26], 2, v[5:6]
	v_lshlrev_b32_e32 v5, 2, v8
	s_delay_alu instid0(VALU_DEP_1) | instskip(NEXT) | instid1(VALU_DEP_3)
	v_lshlrev_b64_e32 v[8:9], 2, v[5:6]
	v_add_co_u32 v25, vcc_lo, s8, v25
	s_wait_alu 0xfffd
	s_delay_alu instid0(VALU_DEP_4) | instskip(SKIP_1) | instid1(VALU_DEP_4)
	v_add_co_ci_u32_e32 v26, vcc_lo, s9, v26, vcc_lo
	v_lshlrev_b32_e32 v5, 2, v7
	v_add_co_u32 v8, vcc_lo, s8, v8
	s_wait_alu 0xfffd
	v_add_co_ci_u32_e32 v9, vcc_lo, s9, v9, vcc_lo
	s_clause 0x1
	global_load_b128 v[25:28], v[25:26], off offset:1276
	global_load_b128 v[29:32], v[8:9], off offset:1276
	v_lshlrev_b64_e32 v[8:9], 2, v[5:6]
	v_mul_lo_u32 v5, s3, v3
	v_mad_co_u64_u32 v[3:4], null, s2, v3, 0
	s_delay_alu instid0(VALU_DEP_3) | instskip(SKIP_1) | instid1(VALU_DEP_4)
	v_add_co_u32 v8, vcc_lo, s8, v8
	s_wait_alu 0xfffd
	v_add_co_ci_u32_e32 v9, vcc_lo, s9, v9, vcc_lo
	s_delay_alu instid0(VALU_DEP_3)
	v_add3_u32 v4, v4, v37, v5
	global_load_b128 v[33:36], v[8:9], off offset:1276
	v_mul_hi_u32 v9, 0x634c0635, v7
	v_lshlrev_b64_e32 v[3:4], 2, v[3:4]
	ds_load_u16 v52, v0 offset:1760
	ds_load_u16 v53, v0 offset:1540
	;; [unrolled: 1-line block ×14, first 2 shown]
	ds_load_u16 v66, v0
	v_lshlrev_b64_e32 v[0:1], 2, v[1:2]
	v_mov_b32_e32 v2, v6
	v_mov_b32_e32 v8, v6
	v_add_co_u32 v3, vcc_lo, s6, v3
	v_lshrrev_b32_e32 v43, 7, v9
	v_mov_b32_e32 v9, v6
	v_mul_hi_u32 v39, 0x634c0635, v40
	s_wait_alu 0xfffd
	v_add_co_ci_u32_e32 v4, vcc_lo, s7, v4, vcc_lo
	v_mul_u32_u24_e32 v5, 0x14a, v43
	v_add_co_u32 v67, vcc_lo, v3, v0
	s_wait_alu 0xfffd
	s_delay_alu instid0(VALU_DEP_3) | instskip(SKIP_4) | instid1(VALU_DEP_4)
	v_add_co_ci_u32_e32 v68, vcc_lo, v4, v1, vcc_lo
	v_lshrrev_b32_e32 v44, 7, v39
	v_mov_b32_e32 v39, v6
	v_mul_hi_u32 v41, 0x634c0635, v42
	v_sub_nc_u32_e32 v5, v7, v5
	v_mul_u32_u24_e32 v37, 0x14a, v44
	s_delay_alu instid0(VALU_DEP_1) | instskip(NEXT) | instid1(VALU_DEP_4)
	v_sub_nc_u32_e32 v37, v40, v37
	v_lshrrev_b32_e32 v50, 7, v41
	s_delay_alu instid0(VALU_DEP_4) | instskip(NEXT) | instid1(VALU_DEP_3)
	v_dual_mov_b32 v41, v6 :: v_dual_lshlrev_b32 v40, 2, v5
	v_mad_u32_u24 v5, 0x672, v44, v37
	s_delay_alu instid0(VALU_DEP_3) | instskip(NEXT) | instid1(VALU_DEP_2)
	v_mul_u32_u24_e32 v7, 0x14a, v50
	v_add_nc_u32_e32 v1, 0x14a, v5
	v_lshlrev_b64_e32 v[3:4], 2, v[5:6]
	s_delay_alu instid0(VALU_DEP_3)
	v_sub_nc_u32_e32 v51, v42, v7
	v_add_nc_u32_e32 v7, 0x294, v5
	v_add_nc_u32_e32 v37, 0x3de, v5
	;; [unrolled: 1-line block ×3, first 2 shown]
	v_add_co_u32 v42, vcc_lo, v67, v40
	v_lshlrev_b64_e32 v[0:1], 2, v[1:2]
	s_wait_alu 0xfffd
	v_add_co_ci_u32_e32 v43, vcc_lo, 0, v68, vcc_lo
	v_lshlrev_b64_e32 v[44:45], 2, v[7:8]
	v_add_co_u32 v2, vcc_lo, v67, v3
	v_lshlrev_b64_e32 v[48:49], 2, v[5:6]
	v_mad_u32_u24 v5, 0x672, v50, v51
	s_wait_alu 0xfffd
	v_add_co_ci_u32_e32 v3, vcc_lo, v68, v4, vcc_lo
	v_lshlrev_b64_e32 v[46:47], 2, v[37:38]
	v_add_co_u32 v0, vcc_lo, v67, v0
	s_wait_alu 0xfffd
	v_add_co_ci_u32_e32 v1, vcc_lo, v68, v1, vcc_lo
	v_add_co_u32 v44, vcc_lo, v67, v44
	v_add_nc_u32_e32 v8, 0x14a, v5
	s_wait_alu 0xfffd
	v_add_co_ci_u32_e32 v45, vcc_lo, v68, v45, vcc_lo
	v_lshlrev_b64_e32 v[50:51], 2, v[5:6]
	v_add_co_u32 v46, vcc_lo, v67, v46
	v_add_nc_u32_e32 v38, 0x294, v5
	s_wait_alu 0xfffd
	v_add_co_ci_u32_e32 v47, vcc_lo, v68, v47, vcc_lo
	v_add_co_u32 v48, vcc_lo, v67, v48
	v_lshlrev_b64_e32 v[7:8], 2, v[8:9]
	v_add_nc_u32_e32 v40, 0x3de, v5
	v_add_nc_u32_e32 v5, 0x528, v5
	s_wait_alu 0xfffd
	v_add_co_ci_u32_e32 v49, vcc_lo, v68, v49, vcc_lo
	v_lshlrev_b64_e32 v[37:38], 2, v[38:39]
	v_add_co_u32 v50, vcc_lo, v67, v50
	s_wait_alu 0xfffd
	v_add_co_ci_u32_e32 v51, vcc_lo, v68, v51, vcc_lo
	v_lshlrev_b64_e32 v[39:40], 2, v[40:41]
	v_lshlrev_b64_e32 v[4:5], 2, v[5:6]
	v_add_co_u32 v6, vcc_lo, v67, v7
	s_wait_alu 0xfffd
	v_add_co_ci_u32_e32 v7, vcc_lo, v68, v8, vcc_lo
	v_add_co_u32 v8, vcc_lo, v67, v37
	s_wait_alu 0xfffd
	v_add_co_ci_u32_e32 v9, vcc_lo, v68, v38, vcc_lo
	;; [unrolled: 3-line block ×4, first 2 shown]
	s_wait_loadcnt 0x2
	v_lshrrev_b32_e32 v39, 16, v25
	v_lshrrev_b32_e32 v40, 16, v26
	;; [unrolled: 1-line block ×4, first 2 shown]
	s_wait_loadcnt 0x1
	v_lshrrev_b32_e32 v72, 16, v29
	v_mul_f16_e32 v67, v21, v39
	v_mul_f16_e32 v68, v24, v40
	;; [unrolled: 1-line block ×4, first 2 shown]
	s_wait_dscnt 0xe
	v_mul_f16_e32 v40, v52, v40
	s_wait_dscnt 0x5
	v_mul_f16_e32 v41, v61, v41
	v_mul_f16_e32 v39, v55, v39
	;; [unrolled: 1-line block ×3, first 2 shown]
	v_lshrrev_b32_e32 v73, 16, v30
	v_lshrrev_b32_e32 v74, 16, v31
	;; [unrolled: 1-line block ×3, first 2 shown]
	v_fmac_f16_e32 v67, v55, v25
	v_fmac_f16_e32 v68, v52, v26
	;; [unrolled: 1-line block ×4, first 2 shown]
	v_fma_f16 v24, v24, v26, -v40
	v_fma_f16 v23, v23, v27, -v41
	v_fma_f16 v21, v21, v25, -v39
	v_fma_f16 v22, v22, v28, -v69
	v_mul_f16_e32 v25, v17, v72
	v_mul_f16_e32 v26, v18, v73
	;; [unrolled: 1-line block ×4, first 2 shown]
	s_wait_dscnt 0x4
	v_mul_f16_e32 v40, v62, v74
	v_mul_f16_e32 v41, v56, v72
	;; [unrolled: 1-line block ×3, first 2 shown]
	s_wait_loadcnt 0x0
	v_lshrrev_b32_e32 v58, 16, v34
	v_lshrrev_b32_e32 v61, 16, v35
	v_mul_f16_e32 v28, v19, v74
	v_lshrrev_b32_e32 v55, 16, v33
	v_lshrrev_b32_e32 v69, 16, v36
	v_sub_f16_e32 v72, v67, v68
	v_sub_f16_e32 v73, v70, v71
	;; [unrolled: 1-line block ×3, first 2 shown]
	v_add_f16_e32 v76, v68, v71
	v_sub_f16_e32 v77, v21, v24
	v_sub_f16_e32 v78, v22, v23
	v_add_f16_e32 v79, v24, v23
	v_sub_f16_e32 v80, v67, v70
	v_sub_f16_e32 v82, v68, v67
	;; [unrolled: 1-line block ×3, first 2 shown]
	v_add_f16_e32 v84, v67, v70
	v_sub_f16_e32 v85, v24, v21
	v_sub_f16_e32 v86, v23, v22
	v_add_f16_e32 v87, v21, v22
	s_wait_dscnt 0x2
	v_add_f16_e32 v67, v67, v64
	v_add_f16_e32 v21, v16, v21
	v_fmac_f16_e32 v25, v56, v29
	v_fmac_f16_e32 v26, v53, v30
	;; [unrolled: 1-line block ×3, first 2 shown]
	v_fma_f16 v18, v18, v30, -v39
	v_fma_f16 v19, v19, v31, -v40
	;; [unrolled: 1-line block ×4, first 2 shown]
	v_mul_f16_e32 v30, v12, v58
	v_mul_f16_e32 v32, v15, v61
	;; [unrolled: 1-line block ×4, first 2 shown]
	v_fmac_f16_e32 v28, v62, v31
	v_mul_f16_e32 v29, v13, v55
	v_mul_f16_e32 v31, v14, v69
	;; [unrolled: 1-line block ×4, first 2 shown]
	v_sub_f16_e32 v74, v24, v23
	v_add_f16_e32 v53, v72, v73
	v_fma_f16 v55, -0.5, v76, v64
	v_add_f16_e32 v56, v77, v78
	v_fma_f16 v58, -0.5, v79, v16
	;; [unrolled: 2-line block ×4, first 2 shown]
	v_add_f16_e32 v64, v68, v67
	v_add_f16_e32 v21, v21, v24
	v_sub_f16_e32 v24, v25, v26
	v_sub_f16_e32 v69, v17, v20
	;; [unrolled: 1-line block ×5, first 2 shown]
	v_add_f16_e32 v84, v25, v27
	v_sub_f16_e32 v85, v18, v17
	v_add_f16_e32 v87, v17, v20
	s_wait_dscnt 0x1
	v_add_f16_e32 v25, v25, v65
	v_add_f16_e32 v17, v11, v17
	v_fmac_f16_e32 v30, v54, v34
	v_fmac_f16_e32 v32, v63, v35
	v_fma_f16 v12, v12, v34, -v39
	v_fma_f16 v15, v15, v35, -v40
	v_sub_f16_e32 v67, v27, v28
	v_add_f16_e32 v72, v26, v28
	v_sub_f16_e32 v83, v28, v27
	v_sub_f16_e32 v86, v19, v20
	v_fmac_f16_e32 v29, v57, v33
	v_fmac_f16_e32 v31, v60, v36
	v_fma_f16 v13, v13, v33, -v41
	v_fma_f16 v14, v14, v36, -v52
	v_sub_f16_e32 v76, v20, v19
	v_sub_f16_e32 v81, v68, v71
	v_add_f16_e32 v39, v71, v64
	v_add_f16_e32 v25, v26, v25
	;; [unrolled: 1-line block ×5, first 2 shown]
	v_sub_f16_e32 v68, v18, v19
	v_add_f16_e32 v77, v18, v19
	v_sub_f16_e32 v79, v26, v28
	v_add_f16_e32 v21, v21, v23
	v_add_f16_e32 v23, v24, v67
	v_fma_f16 v24, -0.5, v72, v65
	v_add_f16_e32 v52, v82, v83
	v_fma_f16 v54, -0.5, v84, v65
	v_add_f16_e32 v57, v85, v86
	v_sub_f16_e32 v18, v29, v30
	v_sub_f16_e32 v26, v31, v32
	;; [unrolled: 1-line block ×4, first 2 shown]
	v_add_f16_e32 v82, v29, v31
	v_add_f16_e32 v85, v13, v14
	;; [unrolled: 1-line block ×3, first 2 shown]
	v_sub_f16_e32 v63, v13, v14
	v_sub_f16_e32 v72, v29, v31
	;; [unrolled: 1-line block ×4, first 2 shown]
	s_wait_dscnt 0x0
	v_add_f16_e32 v29, v29, v66
	v_add_f16_e32 v13, v10, v13
	;; [unrolled: 1-line block ×4, first 2 shown]
	v_fma_f16 v19, -0.5, v64, v66
	v_fma_f16 v28, -0.5, v71, v10
	v_sub_f16_e32 v60, v12, v15
	v_sub_f16_e32 v73, v30, v32
	v_add_f16_e32 v18, v18, v26
	v_add_f16_e32 v26, v65, v67
	v_fma_f16 v65, -0.5, v82, v66
	v_fma_f16 v10, -0.5, v85, v10
	;; [unrolled: 1-line block ×3, first 2 shown]
	v_fmamk_f16 v33, v75, 0x3b9c, v55
	v_fmamk_f16 v35, v74, 0xbb9c, v61
	v_fmac_f16_e32 v61, 0x3b9c, v74
	v_fmac_f16_e32 v55, 0xbb9c, v75
	v_fma_f16 v11, -0.5, v87, v11
	v_add_f16_e32 v29, v30, v29
	v_add_f16_e32 v12, v13, v12
	;; [unrolled: 1-line block ×4, first 2 shown]
	v_fmamk_f16 v20, v63, 0x3b9c, v19
	v_fmamk_f16 v25, v72, 0xbb9c, v28
	v_fmac_f16_e32 v19, 0xbb9c, v63
	v_fmac_f16_e32 v28, 0x3b9c, v72
	v_sub_f16_e32 v77, v32, v31
	v_sub_f16_e32 v84, v15, v14
	v_fmamk_f16 v27, v60, 0xbb9c, v65
	v_fmamk_f16 v30, v73, 0x3b9c, v10
	v_fmac_f16_e32 v65, 0x3b9c, v60
	v_fmac_f16_e32 v10, 0xbb9c, v73
	v_add_f16_e32 v39, v70, v39
	v_add_f16_e32 v21, v22, v21
	v_fmamk_f16 v22, v69, 0x3b9c, v24
	v_fmamk_f16 v70, v78, 0xbb9c, v41
	v_fmac_f16_e32 v24, 0xbb9c, v69
	v_fmac_f16_e32 v41, 0x3b9c, v78
	v_fmamk_f16 v34, v80, 0xbb9c, v58
	v_fmamk_f16 v36, v81, 0x3b9c, v16
	v_fmac_f16_e32 v16, 0xbb9c, v81
	v_fmac_f16_e32 v58, 0x3b9c, v80
	;; [unrolled: 1-line block ×6, first 2 shown]
	v_fmamk_f16 v74, v68, 0xbb9c, v54
	v_fmamk_f16 v75, v79, 0x3b9c, v11
	v_fmac_f16_e32 v54, 0x3b9c, v68
	v_fmac_f16_e32 v11, 0xbb9c, v79
	v_add_f16_e32 v29, v32, v29
	v_add_f16_e32 v12, v12, v15
	v_fmac_f16_e32 v19, 0xb8b4, v60
	v_fmac_f16_e32 v28, 0x38b4, v73
	v_add_f16_e32 v64, v76, v77
	v_add_f16_e32 v66, v83, v84
	v_fmac_f16_e32 v65, 0xb8b4, v63
	v_fmac_f16_e32 v10, 0x38b4, v72
	;; [unrolled: 1-line block ×18, first 2 shown]
	v_pack_b32_f16 v15, v21, v39
	v_add_f16_e32 v21, v31, v29
	v_add_f16_e32 v12, v14, v12
	v_fmac_f16_e32 v19, 0x34f2, v18
	v_fmac_f16_e32 v28, 0x34f2, v26
	;; [unrolled: 1-line block ×24, first 2 shown]
	v_pack_b32_f16 v12, v12, v21
	v_pack_b32_f16 v19, v28, v19
	;; [unrolled: 1-line block ×14, first 2 shown]
	s_clause 0xe
	global_store_b32 v[42:43], v12, off
	global_store_b32 v[42:43], v19, off offset:1320
	global_store_b32 v[42:43], v10, off offset:2640
	;; [unrolled: 1-line block ×4, first 2 shown]
	global_store_b32 v[2:3], v13, off
	global_store_b32 v[0:1], v18, off
	global_store_b32 v[44:45], v11, off
	global_store_b32 v[46:47], v21, off
	global_store_b32 v[48:49], v22, off
	global_store_b32 v[50:51], v15, off
	global_store_b32 v[6:7], v14, off
	global_store_b32 v[8:9], v16, off
	global_store_b32 v[37:38], v17, off
	global_store_b32 v[4:5], v23, off
.LBB0_29:
	s_nop 0
	s_sendmsg sendmsg(MSG_DEALLOC_VGPRS)
	s_endpgm
	.section	.rodata,"a",@progbits
	.p2align	6, 0x0
	.amdhsa_kernel fft_rtc_fwd_len1650_factors_11_2_3_5_5_wgs_110_tpt_110_halfLds_half_op_CI_CI_unitstride_sbrr_dirReg
		.amdhsa_group_segment_fixed_size 0
		.amdhsa_private_segment_fixed_size 0
		.amdhsa_kernarg_size 104
		.amdhsa_user_sgpr_count 2
		.amdhsa_user_sgpr_dispatch_ptr 0
		.amdhsa_user_sgpr_queue_ptr 0
		.amdhsa_user_sgpr_kernarg_segment_ptr 1
		.amdhsa_user_sgpr_dispatch_id 0
		.amdhsa_user_sgpr_private_segment_size 0
		.amdhsa_wavefront_size32 1
		.amdhsa_uses_dynamic_stack 0
		.amdhsa_enable_private_segment 0
		.amdhsa_system_sgpr_workgroup_id_x 1
		.amdhsa_system_sgpr_workgroup_id_y 0
		.amdhsa_system_sgpr_workgroup_id_z 0
		.amdhsa_system_sgpr_workgroup_info 0
		.amdhsa_system_vgpr_workitem_id 0
		.amdhsa_next_free_vgpr 92
		.amdhsa_next_free_sgpr 39
		.amdhsa_reserve_vcc 1
		.amdhsa_float_round_mode_32 0
		.amdhsa_float_round_mode_16_64 0
		.amdhsa_float_denorm_mode_32 3
		.amdhsa_float_denorm_mode_16_64 3
		.amdhsa_fp16_overflow 0
		.amdhsa_workgroup_processor_mode 1
		.amdhsa_memory_ordered 1
		.amdhsa_forward_progress 0
		.amdhsa_round_robin_scheduling 0
		.amdhsa_exception_fp_ieee_invalid_op 0
		.amdhsa_exception_fp_denorm_src 0
		.amdhsa_exception_fp_ieee_div_zero 0
		.amdhsa_exception_fp_ieee_overflow 0
		.amdhsa_exception_fp_ieee_underflow 0
		.amdhsa_exception_fp_ieee_inexact 0
		.amdhsa_exception_int_div_zero 0
	.end_amdhsa_kernel
	.text
.Lfunc_end0:
	.size	fft_rtc_fwd_len1650_factors_11_2_3_5_5_wgs_110_tpt_110_halfLds_half_op_CI_CI_unitstride_sbrr_dirReg, .Lfunc_end0-fft_rtc_fwd_len1650_factors_11_2_3_5_5_wgs_110_tpt_110_halfLds_half_op_CI_CI_unitstride_sbrr_dirReg
                                        ; -- End function
	.section	.AMDGPU.csdata,"",@progbits
; Kernel info:
; codeLenInByte = 15064
; NumSgprs: 41
; NumVgprs: 92
; ScratchSize: 0
; MemoryBound: 0
; FloatMode: 240
; IeeeMode: 1
; LDSByteSize: 0 bytes/workgroup (compile time only)
; SGPRBlocks: 5
; VGPRBlocks: 11
; NumSGPRsForWavesPerEU: 41
; NumVGPRsForWavesPerEU: 92
; Occupancy: 16
; WaveLimiterHint : 1
; COMPUTE_PGM_RSRC2:SCRATCH_EN: 0
; COMPUTE_PGM_RSRC2:USER_SGPR: 2
; COMPUTE_PGM_RSRC2:TRAP_HANDLER: 0
; COMPUTE_PGM_RSRC2:TGID_X_EN: 1
; COMPUTE_PGM_RSRC2:TGID_Y_EN: 0
; COMPUTE_PGM_RSRC2:TGID_Z_EN: 0
; COMPUTE_PGM_RSRC2:TIDIG_COMP_CNT: 0
	.text
	.p2alignl 7, 3214868480
	.fill 96, 4, 3214868480
	.type	__hip_cuid_ffb86e4f7ffb7c2b,@object ; @__hip_cuid_ffb86e4f7ffb7c2b
	.section	.bss,"aw",@nobits
	.globl	__hip_cuid_ffb86e4f7ffb7c2b
__hip_cuid_ffb86e4f7ffb7c2b:
	.byte	0                               ; 0x0
	.size	__hip_cuid_ffb86e4f7ffb7c2b, 1

	.ident	"AMD clang version 19.0.0git (https://github.com/RadeonOpenCompute/llvm-project roc-6.4.0 25133 c7fe45cf4b819c5991fe208aaa96edf142730f1d)"
	.section	".note.GNU-stack","",@progbits
	.addrsig
	.addrsig_sym __hip_cuid_ffb86e4f7ffb7c2b
	.amdgpu_metadata
---
amdhsa.kernels:
  - .args:
      - .actual_access:  read_only
        .address_space:  global
        .offset:         0
        .size:           8
        .value_kind:     global_buffer
      - .offset:         8
        .size:           8
        .value_kind:     by_value
      - .actual_access:  read_only
        .address_space:  global
        .offset:         16
        .size:           8
        .value_kind:     global_buffer
      - .actual_access:  read_only
        .address_space:  global
        .offset:         24
        .size:           8
        .value_kind:     global_buffer
      - .actual_access:  read_only
        .address_space:  global
        .offset:         32
        .size:           8
        .value_kind:     global_buffer
      - .offset:         40
        .size:           8
        .value_kind:     by_value
      - .actual_access:  read_only
        .address_space:  global
        .offset:         48
        .size:           8
        .value_kind:     global_buffer
      - .actual_access:  read_only
        .address_space:  global
        .offset:         56
        .size:           8
        .value_kind:     global_buffer
      - .offset:         64
        .size:           4
        .value_kind:     by_value
      - .actual_access:  read_only
        .address_space:  global
        .offset:         72
        .size:           8
        .value_kind:     global_buffer
      - .actual_access:  read_only
        .address_space:  global
        .offset:         80
        .size:           8
        .value_kind:     global_buffer
      - .actual_access:  read_only
        .address_space:  global
        .offset:         88
        .size:           8
        .value_kind:     global_buffer
      - .actual_access:  write_only
        .address_space:  global
        .offset:         96
        .size:           8
        .value_kind:     global_buffer
    .group_segment_fixed_size: 0
    .kernarg_segment_align: 8
    .kernarg_segment_size: 104
    .language:       OpenCL C
    .language_version:
      - 2
      - 0
    .max_flat_workgroup_size: 110
    .name:           fft_rtc_fwd_len1650_factors_11_2_3_5_5_wgs_110_tpt_110_halfLds_half_op_CI_CI_unitstride_sbrr_dirReg
    .private_segment_fixed_size: 0
    .sgpr_count:     41
    .sgpr_spill_count: 0
    .symbol:         fft_rtc_fwd_len1650_factors_11_2_3_5_5_wgs_110_tpt_110_halfLds_half_op_CI_CI_unitstride_sbrr_dirReg.kd
    .uniform_work_group_size: 1
    .uses_dynamic_stack: false
    .vgpr_count:     92
    .vgpr_spill_count: 0
    .wavefront_size: 32
    .workgroup_processor_mode: 1
amdhsa.target:   amdgcn-amd-amdhsa--gfx1201
amdhsa.version:
  - 1
  - 2
...

	.end_amdgpu_metadata
